;; amdgpu-corpus repo=ROCm/rocFFT kind=compiled arch=gfx1030 opt=O3
	.text
	.amdgcn_target "amdgcn-amd-amdhsa--gfx1030"
	.amdhsa_code_object_version 6
	.protected	fft_rtc_back_len2880_factors_10_6_6_2_2_2_wgs_96_tpt_96_halfLds_dp_op_CI_CI_sbrr_dirReg ; -- Begin function fft_rtc_back_len2880_factors_10_6_6_2_2_2_wgs_96_tpt_96_halfLds_dp_op_CI_CI_sbrr_dirReg
	.globl	fft_rtc_back_len2880_factors_10_6_6_2_2_2_wgs_96_tpt_96_halfLds_dp_op_CI_CI_sbrr_dirReg
	.p2align	8
	.type	fft_rtc_back_len2880_factors_10_6_6_2_2_2_wgs_96_tpt_96_halfLds_dp_op_CI_CI_sbrr_dirReg,@function
fft_rtc_back_len2880_factors_10_6_6_2_2_2_wgs_96_tpt_96_halfLds_dp_op_CI_CI_sbrr_dirReg: ; @fft_rtc_back_len2880_factors_10_6_6_2_2_2_wgs_96_tpt_96_halfLds_dp_op_CI_CI_sbrr_dirReg
; %bb.0:
	s_clause 0x2
	s_load_dwordx4 s[16:19], s[4:5], 0x18
	s_load_dwordx4 s[12:15], s[4:5], 0x0
	;; [unrolled: 1-line block ×3, first 2 shown]
	v_mul_u32_u24_e32 v2, 0x2ab, v0
	v_mov_b32_e32 v1, 0
	v_mov_b32_e32 v4, 0
	;; [unrolled: 1-line block ×3, first 2 shown]
	s_waitcnt lgkmcnt(0)
	s_load_dwordx2 s[20:21], s[16:17], 0x0
	s_load_dwordx2 s[2:3], s[18:19], 0x0
	v_cmp_lt_u64_e64 s0, s[14:15], 2
	v_add_nc_u32_sdwa v6, s6, v2 dst_sel:DWORD dst_unused:UNUSED_PAD src0_sel:DWORD src1_sel:WORD_1
	v_mov_b32_e32 v7, v1
	s_and_b32 vcc_lo, exec_lo, s0
	s_cbranch_vccnz .LBB0_8
; %bb.1:
	s_load_dwordx2 s[0:1], s[4:5], 0x10
	v_mov_b32_e32 v4, 0
	v_mov_b32_e32 v5, 0
	s_add_u32 s6, s18, 8
	s_addc_u32 s7, s19, 0
	s_add_u32 s22, s16, 8
	s_addc_u32 s23, s17, 0
	v_mov_b32_e32 v123, v5
	v_mov_b32_e32 v122, v4
	s_mov_b64 s[26:27], 1
	s_waitcnt lgkmcnt(0)
	s_add_u32 s24, s0, 8
	s_addc_u32 s25, s1, 0
.LBB0_2:                                ; =>This Inner Loop Header: Depth=1
	s_load_dwordx2 s[28:29], s[24:25], 0x0
                                        ; implicit-def: $vgpr124_vgpr125
	s_mov_b32 s0, exec_lo
	s_waitcnt lgkmcnt(0)
	v_or_b32_e32 v2, s29, v7
	v_cmpx_ne_u64_e32 0, v[1:2]
	s_xor_b32 s1, exec_lo, s0
	s_cbranch_execz .LBB0_4
; %bb.3:                                ;   in Loop: Header=BB0_2 Depth=1
	v_cvt_f32_u32_e32 v2, s28
	v_cvt_f32_u32_e32 v3, s29
	s_sub_u32 s0, 0, s28
	s_subb_u32 s30, 0, s29
	v_fmac_f32_e32 v2, 0x4f800000, v3
	v_rcp_f32_e32 v2, v2
	v_mul_f32_e32 v2, 0x5f7ffffc, v2
	v_mul_f32_e32 v3, 0x2f800000, v2
	v_trunc_f32_e32 v3, v3
	v_fmac_f32_e32 v2, 0xcf800000, v3
	v_cvt_u32_f32_e32 v3, v3
	v_cvt_u32_f32_e32 v2, v2
	v_mul_lo_u32 v8, s0, v3
	v_mul_hi_u32 v9, s0, v2
	v_mul_lo_u32 v10, s30, v2
	v_add_nc_u32_e32 v8, v9, v8
	v_mul_lo_u32 v9, s0, v2
	v_add_nc_u32_e32 v8, v8, v10
	v_mul_hi_u32 v10, v2, v9
	v_mul_lo_u32 v11, v2, v8
	v_mul_hi_u32 v12, v2, v8
	v_mul_hi_u32 v13, v3, v9
	v_mul_lo_u32 v9, v3, v9
	v_mul_hi_u32 v14, v3, v8
	v_mul_lo_u32 v8, v3, v8
	v_add_co_u32 v10, vcc_lo, v10, v11
	v_add_co_ci_u32_e32 v11, vcc_lo, 0, v12, vcc_lo
	v_add_co_u32 v9, vcc_lo, v10, v9
	v_add_co_ci_u32_e32 v9, vcc_lo, v11, v13, vcc_lo
	v_add_co_ci_u32_e32 v10, vcc_lo, 0, v14, vcc_lo
	v_add_co_u32 v8, vcc_lo, v9, v8
	v_add_co_ci_u32_e32 v9, vcc_lo, 0, v10, vcc_lo
	v_add_co_u32 v2, vcc_lo, v2, v8
	v_add_co_ci_u32_e32 v3, vcc_lo, v3, v9, vcc_lo
	v_mul_hi_u32 v8, s0, v2
	v_mul_lo_u32 v10, s30, v2
	v_mul_lo_u32 v9, s0, v3
	v_add_nc_u32_e32 v8, v8, v9
	v_mul_lo_u32 v9, s0, v2
	v_add_nc_u32_e32 v8, v8, v10
	v_mul_hi_u32 v10, v2, v9
	v_mul_lo_u32 v11, v2, v8
	v_mul_hi_u32 v12, v2, v8
	v_mul_hi_u32 v13, v3, v9
	v_mul_lo_u32 v9, v3, v9
	v_mul_hi_u32 v14, v3, v8
	v_mul_lo_u32 v8, v3, v8
	v_add_co_u32 v10, vcc_lo, v10, v11
	v_add_co_ci_u32_e32 v11, vcc_lo, 0, v12, vcc_lo
	v_add_co_u32 v9, vcc_lo, v10, v9
	v_add_co_ci_u32_e32 v9, vcc_lo, v11, v13, vcc_lo
	v_add_co_ci_u32_e32 v10, vcc_lo, 0, v14, vcc_lo
	v_add_co_u32 v8, vcc_lo, v9, v8
	v_add_co_ci_u32_e32 v9, vcc_lo, 0, v10, vcc_lo
	v_add_co_u32 v8, vcc_lo, v2, v8
	v_add_co_ci_u32_e32 v10, vcc_lo, v3, v9, vcc_lo
	v_mul_hi_u32 v12, v6, v8
	v_mad_u64_u32 v[8:9], null, v7, v8, 0
	v_mad_u64_u32 v[2:3], null, v6, v10, 0
	v_mad_u64_u32 v[10:11], null, v7, v10, 0
	v_add_co_u32 v2, vcc_lo, v12, v2
	v_add_co_ci_u32_e32 v3, vcc_lo, 0, v3, vcc_lo
	v_add_co_u32 v2, vcc_lo, v2, v8
	v_add_co_ci_u32_e32 v2, vcc_lo, v3, v9, vcc_lo
	v_add_co_ci_u32_e32 v3, vcc_lo, 0, v11, vcc_lo
	v_add_co_u32 v8, vcc_lo, v2, v10
	v_add_co_ci_u32_e32 v9, vcc_lo, 0, v3, vcc_lo
	v_mul_lo_u32 v10, s29, v8
	v_mad_u64_u32 v[2:3], null, s28, v8, 0
	v_mul_lo_u32 v11, s28, v9
	v_sub_co_u32 v2, vcc_lo, v6, v2
	v_add3_u32 v3, v3, v11, v10
	v_sub_nc_u32_e32 v10, v7, v3
	v_subrev_co_ci_u32_e64 v10, s0, s29, v10, vcc_lo
	v_add_co_u32 v11, s0, v8, 2
	v_add_co_ci_u32_e64 v12, s0, 0, v9, s0
	v_sub_co_u32 v13, s0, v2, s28
	v_sub_co_ci_u32_e32 v3, vcc_lo, v7, v3, vcc_lo
	v_subrev_co_ci_u32_e64 v10, s0, 0, v10, s0
	v_cmp_le_u32_e32 vcc_lo, s28, v13
	v_cmp_eq_u32_e64 s0, s29, v3
	v_cndmask_b32_e64 v13, 0, -1, vcc_lo
	v_cmp_le_u32_e32 vcc_lo, s29, v10
	v_cndmask_b32_e64 v14, 0, -1, vcc_lo
	v_cmp_le_u32_e32 vcc_lo, s28, v2
	;; [unrolled: 2-line block ×3, first 2 shown]
	v_cndmask_b32_e64 v15, 0, -1, vcc_lo
	v_cmp_eq_u32_e32 vcc_lo, s29, v10
	v_cndmask_b32_e64 v2, v15, v2, s0
	v_cndmask_b32_e32 v10, v14, v13, vcc_lo
	v_add_co_u32 v13, vcc_lo, v8, 1
	v_add_co_ci_u32_e32 v14, vcc_lo, 0, v9, vcc_lo
	v_cmp_ne_u32_e32 vcc_lo, 0, v10
	v_cndmask_b32_e32 v3, v14, v12, vcc_lo
	v_cndmask_b32_e32 v10, v13, v11, vcc_lo
	v_cmp_ne_u32_e32 vcc_lo, 0, v2
	v_cndmask_b32_e32 v125, v9, v3, vcc_lo
	v_cndmask_b32_e32 v124, v8, v10, vcc_lo
.LBB0_4:                                ;   in Loop: Header=BB0_2 Depth=1
	s_andn2_saveexec_b32 s0, s1
	s_cbranch_execz .LBB0_6
; %bb.5:                                ;   in Loop: Header=BB0_2 Depth=1
	v_cvt_f32_u32_e32 v2, s28
	s_sub_i32 s1, 0, s28
	v_mov_b32_e32 v125, v1
	v_rcp_iflag_f32_e32 v2, v2
	v_mul_f32_e32 v2, 0x4f7ffffe, v2
	v_cvt_u32_f32_e32 v2, v2
	v_mul_lo_u32 v3, s1, v2
	v_mul_hi_u32 v3, v2, v3
	v_add_nc_u32_e32 v2, v2, v3
	v_mul_hi_u32 v2, v6, v2
	v_mul_lo_u32 v3, v2, s28
	v_add_nc_u32_e32 v8, 1, v2
	v_sub_nc_u32_e32 v3, v6, v3
	v_subrev_nc_u32_e32 v9, s28, v3
	v_cmp_le_u32_e32 vcc_lo, s28, v3
	v_cndmask_b32_e32 v3, v3, v9, vcc_lo
	v_cndmask_b32_e32 v2, v2, v8, vcc_lo
	v_cmp_le_u32_e32 vcc_lo, s28, v3
	v_add_nc_u32_e32 v8, 1, v2
	v_cndmask_b32_e32 v124, v2, v8, vcc_lo
.LBB0_6:                                ;   in Loop: Header=BB0_2 Depth=1
	s_or_b32 exec_lo, exec_lo, s0
	v_mul_lo_u32 v8, v125, s28
	v_mul_lo_u32 v9, v124, s29
	s_load_dwordx2 s[0:1], s[22:23], 0x0
	v_mad_u64_u32 v[2:3], null, v124, s28, 0
	s_load_dwordx2 s[28:29], s[6:7], 0x0
	s_add_u32 s26, s26, 1
	s_addc_u32 s27, s27, 0
	s_add_u32 s6, s6, 8
	s_addc_u32 s7, s7, 0
	s_add_u32 s22, s22, 8
	v_add3_u32 v3, v3, v9, v8
	v_sub_co_u32 v2, vcc_lo, v6, v2
	s_addc_u32 s23, s23, 0
	s_add_u32 s24, s24, 8
	v_sub_co_ci_u32_e32 v3, vcc_lo, v7, v3, vcc_lo
	s_addc_u32 s25, s25, 0
	s_waitcnt lgkmcnt(0)
	v_mul_lo_u32 v6, s0, v3
	v_mul_lo_u32 v7, s1, v2
	v_mad_u64_u32 v[4:5], null, s0, v2, v[4:5]
	v_mul_lo_u32 v3, s28, v3
	v_mul_lo_u32 v8, s29, v2
	v_mad_u64_u32 v[122:123], null, s28, v2, v[122:123]
	v_cmp_ge_u64_e64 s0, s[26:27], s[14:15]
	v_add3_u32 v5, v7, v5, v6
	v_add3_u32 v123, v8, v123, v3
	s_and_b32 vcc_lo, exec_lo, s0
	s_cbranch_vccnz .LBB0_9
; %bb.7:                                ;   in Loop: Header=BB0_2 Depth=1
	v_mov_b32_e32 v6, v124
	v_mov_b32_e32 v7, v125
	s_branch .LBB0_2
.LBB0_8:
	v_mov_b32_e32 v123, v5
	v_mov_b32_e32 v125, v7
	;; [unrolled: 1-line block ×4, first 2 shown]
.LBB0_9:
	s_load_dwordx2 s[0:1], s[4:5], 0x28
	v_mul_hi_u32 v1, 0x2aaaaab, v0
	s_lshl_b64 s[6:7], s[14:15], 3
                                        ; implicit-def: $vgpr120
                                        ; implicit-def: $vgpr126
                                        ; implicit-def: $vgpr132
                                        ; implicit-def: $vgpr146
                                        ; implicit-def: $vgpr135
                                        ; implicit-def: $vgpr142
                                        ; implicit-def: $vgpr144
                                        ; implicit-def: $vgpr140
                                        ; implicit-def: $vgpr128
                                        ; implicit-def: $vgpr134
                                        ; implicit-def: $vgpr129
                                        ; implicit-def: $vgpr138
                                        ; implicit-def: $vgpr130
                                        ; implicit-def: $vgpr136
                                        ; implicit-def: $vgpr139
	s_add_u32 s4, s18, s6
	s_addc_u32 s5, s19, s7
	s_waitcnt lgkmcnt(0)
	v_cmp_gt_u64_e32 vcc_lo, s[0:1], v[124:125]
	v_cmp_le_u64_e64 s0, s[0:1], v[124:125]
	s_and_saveexec_b32 s1, s0
	s_xor_b32 s0, exec_lo, s1
	s_cbranch_execz .LBB0_11
; %bb.10:
	v_mul_u32_u24_e32 v1, 0x60, v1
	v_mov_b32_e32 v121, 0
                                        ; implicit-def: $vgpr4_vgpr5
	v_sub_nc_u32_e32 v120, v0, v1
	v_mov_b32_e32 v127, v121
	v_mov_b32_e32 v133, v121
	v_mov_b32_e32 v143, v121
	v_mov_b32_e32 v145, v121
	v_add_nc_u32_e32 v126, 0x60, v120
	v_add_nc_u32_e32 v132, 0xc0, v120
	;; [unrolled: 1-line block ×5, first 2 shown]
	v_or_b32_e32 v144, 0x180, v120
	v_add_nc_u32_e32 v140, 0x240, v120
	v_add_nc_u32_e32 v128, 0x2a0, v120
	v_or_b32_e32 v134, 0x300, v120
	v_add_nc_u32_e32 v129, 0x360, v120
	v_add_nc_u32_e32 v138, 0x420, v120
	;; [unrolled: 3-line block ×3, first 2 shown]
	v_mov_b32_e32 v147, v121
	v_mov_b32_e32 v141, v121
                                        ; implicit-def: $vgpr1
                                        ; implicit-def: $vgpr0
.LBB0_11:
	s_or_saveexec_b32 s1, s0
                                        ; implicit-def: $vgpr2_vgpr3
                                        ; implicit-def: $vgpr10_vgpr11
                                        ; implicit-def: $vgpr26_vgpr27
                                        ; implicit-def: $vgpr14_vgpr15
                                        ; implicit-def: $vgpr30_vgpr31
                                        ; implicit-def: $vgpr22_vgpr23
                                        ; implicit-def: $vgpr38_vgpr39
                                        ; implicit-def: $vgpr18_vgpr19
                                        ; implicit-def: $vgpr34_vgpr35
                                        ; implicit-def: $vgpr6_vgpr7
                                        ; implicit-def: $vgpr42_vgpr43
                                        ; implicit-def: $vgpr62_vgpr63
                                        ; implicit-def: $vgpr50_vgpr51
                                        ; implicit-def: $vgpr70_vgpr71
                                        ; implicit-def: $vgpr58_vgpr59
                                        ; implicit-def: $vgpr98_vgpr99
                                        ; implicit-def: $vgpr54_vgpr55
                                        ; implicit-def: $vgpr74_vgpr75
                                        ; implicit-def: $vgpr66_vgpr67
                                        ; implicit-def: $vgpr46_vgpr47
                                        ; implicit-def: $vgpr78_vgpr79
                                        ; implicit-def: $vgpr82_vgpr83
                                        ; implicit-def: $vgpr94_vgpr95
                                        ; implicit-def: $vgpr90_vgpr91
                                        ; implicit-def: $vgpr106_vgpr107
                                        ; implicit-def: $vgpr102_vgpr103
                                        ; implicit-def: $vgpr114_vgpr115
                                        ; implicit-def: $vgpr118_vgpr119
                                        ; implicit-def: $vgpr110_vgpr111
                                        ; implicit-def: $vgpr86_vgpr87
	s_xor_b32 exec_lo, exec_lo, s1
	s_cbranch_execz .LBB0_13
; %bb.12:
	s_add_u32 s6, s16, s6
	s_addc_u32 s7, s17, s7
	v_mul_u32_u24_e32 v1, 0x60, v1
	s_load_dwordx2 s[6:7], s[6:7], 0x0
	v_lshlrev_b64 v[2:3], 4, v[4:5]
	v_mov_b32_e32 v121, 0
	v_sub_nc_u32_e32 v120, v0, v1
	v_mov_b32_e32 v143, v121
	v_mov_b32_e32 v141, v121
	v_add_nc_u32_e32 v142, 0x120, v120
	v_add_nc_u32_e32 v140, 0x240, v120
	v_mad_u64_u32 v[0:1], null, s20, v120, 0
	v_add_nc_u32_e32 v129, 0x360, v120
	v_mad_u64_u32 v[4:5], null, s20, v142, 0
	v_mad_u64_u32 v[6:7], null, s20, v140, 0
	v_or_b32_e32 v130, 0x480, v120
	v_mad_u64_u32 v[10:11], null, s21, v120, v[1:2]
	s_waitcnt lgkmcnt(0)
	v_mul_lo_u32 v13, s7, v124
	v_mul_lo_u32 v14, s6, v125
	v_mad_u64_u32 v[8:9], null, s6, v124, 0
	v_mov_b32_e32 v1, v5
	v_mad_u64_u32 v[11:12], null, s20, v129, 0
	v_mov_b32_e32 v5, v7
	v_add_nc_u32_e32 v18, 0x6c0, v120
	v_add_nc_u32_e32 v22, 0x7e0, v120
	v_add3_u32 v9, v9, v14, v13
	v_mad_u64_u32 v[13:14], null, s21, v142, v[1:2]
	v_mov_b32_e32 v1, v10
	v_mad_u64_u32 v[14:15], null, s20, v130, 0
	v_lshlrev_b64 v[7:8], 4, v[8:9]
	v_mad_u64_u32 v[9:10], null, s21, v140, v[5:6]
	v_mov_b32_e32 v10, v12
	v_mov_b32_e32 v5, v13
	v_lshlrev_b64 v[0:1], 4, v[0:1]
	v_add_co_u32 v12, s0, s8, v7
	v_add_co_ci_u32_e64 v8, s0, s9, v8, s0
	v_mov_b32_e32 v7, v9
	v_add_co_u32 v20, s0, v12, v2
	v_add_co_ci_u32_e64 v21, s0, v8, v3, s0
	v_lshlrev_b64 v[2:3], 4, v[4:5]
	v_mad_u64_u32 v[4:5], null, s21, v129, v[10:11]
	v_add_nc_u32_e32 v10, 0x5a0, v120
	v_lshlrev_b64 v[5:6], 4, v[6:7]
	v_mov_b32_e32 v7, v15
	v_add_co_u32 v0, s0, v20, v0
	v_mad_u64_u32 v[16:17], null, s20, v10, 0
	v_add_co_ci_u32_e64 v1, s0, v21, v1, s0
	v_mov_b32_e32 v12, v4
	v_mad_u64_u32 v[7:8], null, s21, v130, v[7:8]
	v_add_co_u32 v2, s0, v20, v2
	v_add_co_ci_u32_e64 v3, s0, v21, v3, s0
	v_add_co_u32 v4, s0, v20, v5
	v_lshlrev_b64 v[8:9], 4, v[11:12]
	v_add_co_ci_u32_e64 v5, s0, v21, v6, s0
	v_mov_b32_e32 v6, v17
	v_mad_u64_u32 v[12:13], null, s20, v18, 0
	v_mov_b32_e32 v15, v7
	v_or_b32_e32 v24, 0x900, v120
	v_mad_u64_u32 v[10:11], null, s21, v10, v[6:7]
	v_add_co_u32 v6, s0, v20, v8
	v_add_co_ci_u32_e64 v7, s0, v21, v9, s0
	v_lshlrev_b64 v[8:9], 4, v[14:15]
	v_mad_u64_u32 v[14:15], null, s20, v22, 0
	v_mov_b32_e32 v11, v13
	v_mov_b32_e32 v17, v10
	v_add_nc_u32_e32 v26, 0xa20, v120
	v_add_co_u32 v8, s0, v20, v8
	v_mad_u64_u32 v[10:11], null, s21, v18, v[11:12]
	v_mov_b32_e32 v11, v15
	v_mad_u64_u32 v[18:19], null, s20, v24, 0
	v_lshlrev_b64 v[16:17], 4, v[16:17]
	v_add_co_ci_u32_e64 v9, s0, v21, v9, s0
	v_mad_u64_u32 v[22:23], null, s21, v22, v[11:12]
	v_mov_b32_e32 v13, v10
	v_add_co_u32 v10, s0, v20, v16
	v_mov_b32_e32 v16, v19
	v_add_co_ci_u32_e64 v11, s0, v21, v17, s0
	v_mov_b32_e32 v15, v22
	v_mad_u64_u32 v[22:23], null, s20, v26, 0
	v_mad_u64_u32 v[16:17], null, s21, v24, v[16:17]
	v_add_nc_u32_e32 v126, 0x60, v120
	v_lshlrev_b64 v[12:13], 4, v[12:13]
	v_or_b32_e32 v144, 0x180, v120
	v_lshlrev_b64 v[14:15], 4, v[14:15]
	v_mov_b32_e32 v17, v23
	v_mad_u64_u32 v[24:25], null, s20, v126, 0
	v_mov_b32_e32 v19, v16
	v_add_co_u32 v12, s0, v20, v12
	v_mad_u64_u32 v[16:17], null, s21, v26, v[17:18]
	v_lshlrev_b64 v[17:18], 4, v[18:19]
	v_mov_b32_e32 v19, v25
	v_mad_u64_u32 v[26:27], null, s20, v144, 0
	v_add_nc_u32_e32 v128, 0x2a0, v120
	v_add_co_ci_u32_e64 v13, s0, v21, v13, s0
	v_mad_u64_u32 v[28:29], null, s21, v126, v[19:20]
	v_add_co_u32 v14, s0, v20, v14
	v_mov_b32_e32 v23, v16
	v_add_co_ci_u32_e64 v15, s0, v21, v15, s0
	v_add_co_u32 v16, s0, v20, v17
	v_mov_b32_e32 v25, v28
	v_mad_u64_u32 v[28:29], null, s20, v128, 0
	v_add_co_ci_u32_e64 v17, s0, v21, v18, s0
	v_lshlrev_b64 v[18:19], 4, v[22:23]
	v_mov_b32_e32 v22, v27
	v_add_nc_u32_e32 v135, 0x3c0, v120
	v_add_nc_u32_e32 v136, 0x4e0, v120
	v_or_b32_e32 v38, 0x600, v120
	v_add_nc_u32_e32 v40, 0x720, v120
	v_mad_u64_u32 v[22:23], null, s21, v144, v[22:23]
	v_lshlrev_b64 v[23:24], 4, v[24:25]
	v_mov_b32_e32 v25, v29
	v_mad_u64_u32 v[30:31], null, s20, v135, 0
	v_add_co_u32 v18, s0, v20, v18
	v_mad_u64_u32 v[32:33], null, s21, v128, v[25:26]
	v_mov_b32_e32 v27, v22
	v_add_co_ci_u32_e64 v19, s0, v21, v19, s0
	v_add_co_u32 v22, s0, v20, v23
	v_add_co_ci_u32_e64 v23, s0, v21, v24, s0
	v_mov_b32_e32 v29, v32
	v_mad_u64_u32 v[32:33], null, s20, v136, 0
	v_lshlrev_b64 v[24:25], 4, v[26:27]
	v_mov_b32_e32 v26, v31
	v_mad_u64_u32 v[34:35], null, s20, v38, 0
	v_add_nc_u32_e32 v42, 0x840, v120
	v_add_nc_u32_e32 v44, 0x960, v120
	v_mad_u64_u32 v[26:27], null, s21, v135, v[26:27]
	v_lshlrev_b64 v[27:28], 4, v[28:29]
	v_mov_b32_e32 v29, v33
	v_add_co_u32 v24, s0, v20, v24
	v_add_co_ci_u32_e64 v25, s0, v21, v25, s0
	v_mad_u64_u32 v[36:37], null, s21, v136, v[29:30]
	v_mov_b32_e32 v31, v26
	v_add_co_u32 v26, s0, v20, v27
	v_add_co_ci_u32_e64 v27, s0, v21, v28, s0
	v_lshlrev_b64 v[28:29], 4, v[30:31]
	v_mov_b32_e32 v33, v36
	v_mad_u64_u32 v[36:37], null, s20, v40, 0
	v_mov_b32_e32 v30, v35
	v_or_b32_e32 v46, 0xa80, v120
	v_add_co_u32 v28, s0, v20, v28
	v_add_co_ci_u32_e64 v29, s0, v21, v29, s0
	v_mad_u64_u32 v[30:31], null, s21, v38, v[30:31]
	v_lshlrev_b64 v[31:32], 4, v[32:33]
	v_mov_b32_e32 v33, v37
	v_mad_u64_u32 v[38:39], null, s20, v42, 0
	v_add_nc_u32_e32 v132, 0xc0, v120
	v_add_nc_u32_e32 v146, 0x1e0, v120
	v_mad_u64_u32 v[40:41], null, s21, v40, v[33:34]
	v_mov_b32_e32 v35, v30
	v_add_co_u32 v30, s0, v20, v31
	v_add_co_ci_u32_e64 v31, s0, v21, v32, s0
	v_lshlrev_b64 v[32:33], 4, v[34:35]
	v_mov_b32_e32 v34, v39
	v_mov_b32_e32 v37, v40
	v_mad_u64_u32 v[40:41], null, s20, v44, 0
	v_or_b32_e32 v134, 0x300, v120
	v_mad_u64_u32 v[34:35], null, s21, v42, v[34:35]
	v_lshlrev_b64 v[36:37], 4, v[36:37]
	v_mad_u64_u32 v[42:43], null, s20, v46, 0
	v_mov_b32_e32 v35, v41
	v_add_co_u32 v32, s0, v20, v32
	v_mov_b32_e32 v39, v34
	v_add_co_ci_u32_e64 v33, s0, v21, v33, s0
	v_mad_u64_u32 v[44:45], null, s21, v44, v[35:36]
	v_add_co_u32 v34, s0, v20, v36
	v_add_co_ci_u32_e64 v35, s0, v21, v37, s0
	v_lshlrev_b64 v[36:37], 4, v[38:39]
	v_mov_b32_e32 v38, v43
	v_mov_b32_e32 v41, v44
	v_mad_u64_u32 v[44:45], null, s20, v132, 0
	v_add_nc_u32_e32 v138, 0x420, v120
	v_mad_u64_u32 v[38:39], null, s21, v46, v[38:39]
	v_mad_u64_u32 v[46:47], null, s20, v146, 0
	v_lshlrev_b64 v[39:40], 4, v[40:41]
	v_mov_b32_e32 v41, v45
	v_add_nc_u32_e32 v139, 0x540, v120
	v_add_co_u32 v36, s0, v20, v36
	v_mov_b32_e32 v43, v38
	v_mov_b32_e32 v38, v47
	v_mad_u64_u32 v[47:48], null, s21, v132, v[41:42]
	v_mad_u64_u32 v[48:49], null, s20, v134, 0
	;; [unrolled: 1-line block ×3, first 2 shown]
	v_add_co_ci_u32_e64 v37, s0, v21, v37, s0
	v_add_co_u32 v38, s0, v20, v39
	v_mov_b32_e32 v45, v47
	v_mad_u64_u32 v[52:53], null, s20, v139, 0
	v_mov_b32_e32 v47, v50
	v_mad_u64_u32 v[50:51], null, s20, v138, 0
	v_add_co_ci_u32_e64 v39, s0, v21, v40, s0
	v_lshlrev_b64 v[40:41], 4, v[42:43]
	v_mov_b32_e32 v42, v49
	v_lshlrev_b64 v[46:47], 4, v[46:47]
	v_or_b32_e32 v56, 0x780, v120
	v_add_nc_u32_e32 v57, 0x8a0, v120
	v_mov_b32_e32 v127, v121
	v_mad_u64_u32 v[42:43], null, s21, v134, v[42:43]
	v_lshlrev_b64 v[43:44], 4, v[44:45]
	v_mov_b32_e32 v45, v51
	v_mov_b32_e32 v51, v53
	v_add_co_u32 v40, s0, v20, v40
	v_add_co_ci_u32_e64 v41, s0, v21, v41, s0
	v_mad_u64_u32 v[53:54], null, s21, v138, v[45:46]
	v_mad_u64_u32 v[54:55], null, s21, v139, v[51:52]
	v_mov_b32_e32 v49, v42
	v_add_co_u32 v147, s0, v20, v43
	v_add_nc_u32_e32 v55, 0x660, v120
	v_add_co_ci_u32_e64 v148, s0, v21, v44, s0
	v_add_co_u32 v149, s0, v20, v46
	v_lshlrev_b64 v[42:43], 4, v[48:49]
	v_add_co_ci_u32_e64 v150, s0, v21, v47, s0
	v_mad_u64_u32 v[44:45], null, s20, v55, 0
	v_mad_u64_u32 v[46:47], null, s20, v56, 0
	v_add_co_u32 v151, s0, v20, v42
	v_mov_b32_e32 v51, v53
	v_add_co_ci_u32_e64 v152, s0, v21, v43, s0
	v_mov_b32_e32 v42, v45
	v_mov_b32_e32 v43, v47
	v_lshlrev_b64 v[48:49], 4, v[50:51]
	v_mov_b32_e32 v53, v54
	v_mov_b32_e32 v145, v121
	;; [unrolled: 1-line block ×3, first 2 shown]
	v_mad_u64_u32 v[50:51], null, s21, v55, v[42:43]
	v_mad_u64_u32 v[54:55], null, s20, v57, 0
	;; [unrolled: 1-line block ×3, first 2 shown]
	v_add_co_u32 v153, s0, v20, v48
	v_mov_b32_e32 v45, v50
	v_add_nc_u32_e32 v50, 0x9c0, v120
	v_add_co_ci_u32_e64 v154, s0, v21, v49, s0
	v_mov_b32_e32 v43, v55
	v_mov_b32_e32 v47, v42
	v_mad_u64_u32 v[48:49], null, s20, v50, 0
	v_lshlrev_b64 v[51:52], 4, v[52:53]
	v_add_nc_u32_e32 v53, 0xae0, v120
	v_mad_u64_u32 v[42:43], null, s21, v57, v[43:44]
	v_lshlrev_b64 v[46:47], 4, v[46:47]
	v_lshlrev_b64 v[43:44], 4, v[44:45]
	v_mad_u64_u32 v[56:57], null, s20, v53, 0
	v_mov_b32_e32 v45, v49
	v_add_co_u32 v155, s0, v20, v51
	v_add_co_ci_u32_e64 v156, s0, v21, v52, s0
	v_mad_u64_u32 v[50:51], null, s21, v50, v[45:46]
	v_mov_b32_e32 v49, v57
	v_mov_b32_e32 v55, v42
	v_add_co_u32 v157, s0, v20, v43
	v_add_co_ci_u32_e64 v158, s0, v21, v44, s0
	v_mad_u64_u32 v[51:52], null, s21, v53, v[49:50]
	v_lshlrev_b64 v[42:43], 4, v[54:55]
	v_mov_b32_e32 v49, v50
	v_add_co_u32 v159, s0, v20, v46
	v_add_co_ci_u32_e64 v160, s0, v21, v47, s0
	v_mov_b32_e32 v57, v51
	v_lshlrev_b64 v[44:45], 4, v[48:49]
	v_add_co_u32 v161, s0, v20, v42
	v_add_co_ci_u32_e64 v162, s0, v21, v43, s0
	v_lshlrev_b64 v[42:43], 4, v[56:57]
	v_add_co_u32 v163, s0, v20, v44
	v_add_co_ci_u32_e64 v164, s0, v21, v45, s0
	v_add_co_u32 v165, s0, v20, v42
	v_add_co_ci_u32_e64 v166, s0, v21, v43, s0
	s_clause 0x1d
	global_load_dwordx4 v[84:87], v[0:1], off
	global_load_dwordx4 v[108:111], v[2:3], off
	;; [unrolled: 1-line block ×30, first 2 shown]
	v_mov_b32_e32 v147, v121
.LBB0_13:
	s_or_b32 exec_lo, exec_lo, s1
	s_waitcnt vmcnt(22)
	v_add_f64 v[148:149], v[94:95], v[106:107]
	s_waitcnt vmcnt(20)
	v_add_f64 v[150:151], v[78:79], v[114:115]
	v_add_f64 v[160:161], v[92:93], v[104:105]
	;; [unrolled: 1-line block ×3, first 2 shown]
	v_add_f64 v[176:177], v[112:113], -v[76:77]
	v_add_f64 v[180:181], v[104:105], -v[92:93]
	s_mov_b32 s14, 0x134454ff
	s_mov_b32 s15, 0xbfee6f0e
	;; [unrolled: 1-line block ×4, first 2 shown]
	v_add_f64 v[152:153], v[88:89], v[100:101]
	v_add_f64 v[154:155], v[80:81], v[116:117]
	;; [unrolled: 1-line block ×7, first 2 shown]
	v_add_f64 v[172:173], v[118:119], -v[82:83]
	v_add_f64 v[174:175], v[116:117], -v[100:101]
	;; [unrolled: 1-line block ×5, first 2 shown]
	v_fma_f64 v[178:179], v[148:149], -0.5, v[110:111]
	v_fma_f64 v[150:151], v[150:151], -0.5, v[110:111]
	v_add_f64 v[110:111], v[116:117], -v[80:81]
	v_add_f64 v[148:149], v[118:119], -v[102:103]
	;; [unrolled: 1-line block ×7, first 2 shown]
	v_fma_f64 v[160:161], v[160:161], -0.5, v[108:109]
	v_fma_f64 v[108:109], v[162:163], -0.5, v[108:109]
	s_mov_b32 s16, 0x4755a5e
	s_mov_b32 s17, 0xbfe2cf23
	;; [unrolled: 1-line block ×4, first 2 shown]
	v_add_f64 v[184:185], v[112:113], -v[104:105]
	v_add_f64 v[112:113], v[104:105], -v[112:113]
	;; [unrolled: 1-line block ×5, first 2 shown]
	v_fma_f64 v[152:153], v[152:153], -0.5, v[84:85]
	v_fma_f64 v[84:85], v[154:155], -0.5, v[84:85]
	v_fma_f64 v[198:199], v[176:177], s[0:1], v[178:179]
	v_fma_f64 v[162:163], v[180:181], s[14:15], v[150:151]
	;; [unrolled: 1-line block ×4, first 2 shown]
	s_mov_b32 s8, 0x372fe950
	s_mov_b32 s9, 0x3fd3c6ef
	v_add_f64 v[190:191], v[80:81], -v[88:89]
	v_add_f64 v[154:155], v[192:193], v[186:187]
	v_add_f64 v[114:115], v[194:195], v[114:115]
	v_fma_f64 v[186:187], v[118:119], s[14:15], v[160:161]
	v_fma_f64 v[160:161], v[118:119], s[0:1], v[160:161]
	v_fma_f64 v[194:195], v[188:189], s[0:1], v[108:109]
	v_fma_f64 v[108:109], v[188:189], s[14:15], v[108:109]
	v_add_f64 v[196:197], v[88:89], -v[80:81]
	v_add_f64 v[168:169], v[104:105], v[168:169]
	v_add_f64 v[156:157], v[90:91], v[102:103]
	;; [unrolled: 1-line block ×6, first 2 shown]
	s_mov_b32 s18, 0x9b97f4a8
	v_fma_f64 v[200:201], v[204:205], s[0:1], v[84:85]
	v_fma_f64 v[192:193], v[180:181], s[6:7], v[198:199]
	;; [unrolled: 1-line block ×5, first 2 shown]
	v_add_f64 v[198:199], v[100:101], -v[88:89]
	v_add_f64 v[100:101], v[100:101], v[164:165]
	v_fma_f64 v[164:165], v[172:173], s[14:15], v[152:153]
	v_fma_f64 v[152:153], v[172:173], s[0:1], v[152:153]
	;; [unrolled: 1-line block ×5, first 2 shown]
	s_waitcnt vmcnt(17)
	v_add_f64 v[178:179], v[72:73], v[44:45]
	v_fma_f64 v[108:109], v[118:119], s[6:7], v[108:109]
	v_add_f64 v[180:181], v[74:75], v[46:47]
	v_add_f64 v[174:175], v[190:191], v[174:175]
	;; [unrolled: 1-line block ×4, first 2 shown]
	s_mov_b32 s19, 0x3fe9e377
	s_mov_b32 s21, 0xbfd3c6ef
	;; [unrolled: 1-line block ×3, first 2 shown]
	v_add_f64 v[206:207], v[82:83], -v[90:91]
	s_waitcnt vmcnt(13)
	v_add_f64 v[190:191], v[70:71], v[98:99]
	v_fma_f64 v[188:189], v[154:155], s[8:9], v[192:193]
	v_fma_f64 v[192:193], v[118:119], s[16:17], v[194:195]
	;; [unrolled: 1-line block ×5, first 2 shown]
	v_add_f64 v[88:89], v[88:89], v[100:101]
	v_fma_f64 v[100:101], v[204:205], s[16:17], v[164:165]
	v_fma_f64 v[152:153], v[204:205], s[6:7], v[152:153]
	;; [unrolled: 1-line block ×7, first 2 shown]
	v_add_f64 v[150:151], v[90:91], -v[82:83]
	v_add_f64 v[154:155], v[68:69], v[96:97]
	v_add_f64 v[162:163], v[98:99], -v[70:71]
	v_add_f64 v[176:177], v[72:73], -v[96:97]
	;; [unrolled: 1-line block ×5, first 2 shown]
	v_add_f64 v[200:201], v[52:53], v[64:65]
	v_add_f64 v[98:99], v[98:99], v[180:181]
	v_mul_f64 v[160:161], v[188:189], s[16:17]
	v_fma_f64 v[172:173], v[112:113], s[8:9], v[192:193]
	v_mul_f64 v[184:185], v[104:105], s[14:15]
	v_mul_f64 v[108:109], v[114:115], s[14:15]
	;; [unrolled: 1-line block ×3, first 2 shown]
	v_add_f64 v[192:193], v[96:97], -v[68:69]
	v_add_f64 v[96:97], v[96:97], v[178:179]
	v_add_f64 v[94:95], v[94:95], v[170:171]
	;; [unrolled: 1-line block ×5, first 2 shown]
	v_fma_f64 v[92:93], v[174:175], s[8:9], v[100:101]
	v_fma_f64 v[100:101], v[174:175], s[8:9], v[152:153]
	v_fma_f64 v[166:167], v[182:183], s[8:9], v[84:85]
	s_waitcnt vmcnt(12)
	v_add_f64 v[202:203], v[50:51], v[58:59]
	s_waitcnt vmcnt(10)
	v_add_f64 v[204:205], v[40:41], v[52:53]
	v_add_f64 v[208:209], v[42:43], v[54:55]
	s_mov_b32 s23, 0xbfe9e377
	s_mov_b32 s22, s18
	v_fma_f64 v[156:157], v[156:157], -0.5, v[86:87]
	v_fma_f64 v[158:159], v[158:159], -0.5, v[86:87]
	v_add_f64 v[200:201], v[56:57], v[200:201]
	v_fma_f64 v[152:153], v[168:169], s[18:19], v[160:161]
	v_fma_f64 v[160:161], v[182:183], s[8:9], v[164:165]
	;; [unrolled: 1-line block ×4, first 2 shown]
	v_add_f64 v[182:183], v[54:55], v[66:67]
	v_fma_f64 v[174:175], v[102:103], s[22:23], v[112:113]
	v_add_f64 v[184:185], v[48:49], v[56:57]
	v_add_f64 v[96:97], v[68:69], v[96:97]
	;; [unrolled: 1-line block ×6, first 2 shown]
	v_add_f64 v[86:87], v[80:81], -v[76:77]
	v_add_f64 v[178:179], v[74:75], -v[62:63]
	v_add_f64 v[180:181], v[60:61], v[72:73]
	v_fma_f64 v[204:205], v[204:205], -0.5, v[64:65]
	v_add_f64 v[72:73], v[72:73], -v[60:61]
	v_add_f64 v[74:75], v[62:63], v[74:75]
	v_fma_f64 v[190:191], v[190:191], -0.5, v[46:47]
	v_add_f64 v[116:117], v[150:151], v[116:117]
	v_mul_f64 v[114:115], v[114:115], s[20:21]
	v_mul_f64 v[118:119], v[118:119], s[22:23]
	v_add_f64 v[90:91], v[92:93], v[152:153]
	v_add_f64 v[76:77], v[92:93], -v[152:153]
	v_add_f64 v[78:79], v[160:161], -v[164:165]
	v_add_f64 v[92:93], v[160:161], v[164:165]
	v_add_f64 v[94:95], v[166:167], v[170:171]
	v_add_f64 v[80:81], v[166:167], -v[170:171]
	v_add_f64 v[152:153], v[58:59], v[182:183]
	v_add_f64 v[164:165], v[52:53], -v[40:41]
	v_fma_f64 v[166:167], v[202:203], -0.5, v[66:67]
	v_add_f64 v[170:171], v[56:57], -v[48:49]
	v_fma_f64 v[66:67], v[208:209], -0.5, v[66:67]
	v_add_f64 v[202:203], v[58:59], -v[50:51]
	v_add_f64 v[84:85], v[100:101], v[174:175]
	v_add_f64 v[82:83], v[100:101], -v[174:175]
	v_add_f64 v[160:161], v[60:61], -v[68:69]
	;; [unrolled: 1-line block ×6, first 2 shown]
	v_fma_f64 v[184:185], v[184:185], -0.5, v[64:65]
	v_add_f64 v[64:65], v[60:61], v[96:97]
	v_add_f64 v[100:101], v[62:63], v[98:99]
	v_fma_f64 v[60:61], v[154:155], -0.5, v[44:45]
	v_add_f64 v[62:63], v[48:49], v[200:201]
	v_add_f64 v[96:97], v[52:53], -v[56:57]
	v_add_f64 v[98:99], v[54:55], -v[58:59]
	v_fma_f64 v[154:155], v[110:111], s[0:1], v[156:157]
	v_fma_f64 v[156:157], v[110:111], s[14:15], v[156:157]
	v_add_f64 v[152:153], v[50:51], v[152:153]
	v_add_f64 v[54:55], v[58:59], -v[54:55]
	v_add_f64 v[58:59], v[40:41], -v[48:49]
	;; [unrolled: 1-line block ×3, first 2 shown]
	v_fma_f64 v[208:209], v[164:165], s[0:1], v[166:167]
	v_fma_f64 v[166:167], v[164:165], s[14:15], v[166:167]
	v_add_f64 v[50:51], v[50:51], -v[42:43]
	v_fma_f64 v[210:211], v[170:171], s[14:15], v[66:67]
	v_fma_f64 v[66:67], v[170:171], s[0:1], v[66:67]
	v_add_f64 v[52:53], v[56:57], -v[52:53]
	v_add_f64 v[48:49], v[48:49], -v[40:41]
	v_fma_f64 v[212:213], v[202:203], s[0:1], v[204:205]
	v_fma_f64 v[180:181], v[180:181], -0.5, v[44:45]
	v_fma_f64 v[56:57], v[182:183], s[14:15], v[184:185]
	v_fma_f64 v[46:47], v[74:75], -0.5, v[46:47]
	v_fma_f64 v[74:75], v[198:199], s[14:15], v[158:159]
	v_add_f64 v[68:69], v[68:69], v[186:187]
	v_add_f64 v[44:45], v[40:41], v[62:63]
	;; [unrolled: 1-line block ×3, first 2 shown]
	v_fma_f64 v[148:149], v[198:199], s[0:1], v[158:159]
	v_fma_f64 v[154:155], v[198:199], s[6:7], v[154:155]
	;; [unrolled: 1-line block ×3, first 2 shown]
	v_add_f64 v[40:41], v[42:43], v[152:153]
	v_fma_f64 v[42:43], v[178:179], s[14:15], v[60:61]
	v_add_f64 v[58:59], v[58:59], v[96:97]
	v_add_f64 v[96:97], v[200:201], v[98:99]
	v_fma_f64 v[98:99], v[170:171], s[6:7], v[208:209]
	v_fma_f64 v[152:153], v[170:171], s[16:17], v[166:167]
	v_add_f64 v[50:51], v[50:51], v[54:55]
	v_fma_f64 v[54:55], v[164:165], s[6:7], v[210:211]
	v_fma_f64 v[66:67], v[164:165], s[16:17], v[66:67]
	;; [unrolled: 1-line block ×3, first 2 shown]
	v_add_f64 v[48:49], v[48:49], v[52:53]
	v_fma_f64 v[52:53], v[182:183], s[16:17], v[212:213]
	v_fma_f64 v[158:159], v[202:203], s[14:15], v[204:205]
	;; [unrolled: 1-line block ×11, first 2 shown]
	v_add_f64 v[62:63], v[160:161], v[176:177]
	v_fma_f64 v[156:157], v[72:73], s[0:1], v[190:191]
	v_fma_f64 v[160:161], v[72:73], s[14:15], v[190:191]
	;; [unrolled: 1-line block ×9, first 2 shown]
	v_mul_f64 v[152:153], v[168:169], s[6:7]
	v_fma_f64 v[52:53], v[48:49], s[8:9], v[52:53]
	v_fma_f64 v[158:159], v[182:183], s[6:7], v[158:159]
	;; [unrolled: 1-line block ×4, first 2 shown]
	v_mul_f64 v[164:165], v[172:173], s[0:1]
	v_fma_f64 v[150:151], v[178:179], s[16:17], v[150:151]
	v_fma_f64 v[162:163], v[178:179], s[6:7], v[166:167]
	v_add_f64 v[166:167], v[174:175], v[194:195]
	v_add_f64 v[70:71], v[70:71], v[196:197]
	v_fma_f64 v[168:169], v[72:73], s[6:7], v[170:171]
	v_fma_f64 v[106:107], v[106:107], s[0:1], v[114:115]
	s_waitcnt vmcnt(0)
	v_add_f64 v[114:115], v[2:3], v[38:39]
	v_fma_f64 v[156:157], v[192:193], s[6:7], v[156:157]
	v_fma_f64 v[160:161], v[192:193], s[16:17], v[160:161]
	;; [unrolled: 1-line block ×3, first 2 shown]
	v_mul_f64 v[170:171], v[98:99], s[16:17]
	v_mul_f64 v[172:173], v[96:97], s[16:17]
	v_fma_f64 v[74:75], v[116:117], s[8:9], v[74:75]
	v_fma_f64 v[110:111], v[116:117], s[8:9], v[110:111]
	v_add_f64 v[116:117], v[26:27], v[30:31]
	v_fma_f64 v[66:67], v[58:59], s[8:9], v[66:67]
	v_mul_f64 v[72:73], v[54:55], s[14:15]
	v_mul_f64 v[174:175], v[52:53], s[0:1]
	v_fma_f64 v[48:49], v[48:49], s[8:9], v[158:159]
	v_mul_f64 v[158:159], v[50:51], s[14:15]
	v_mul_f64 v[58:59], v[56:57], s[6:7]
	;; [unrolled: 1-line block ×3, first 2 shown]
	v_fma_f64 v[152:153], v[188:189], s[18:19], v[152:153]
	v_fma_f64 v[104:105], v[104:105], s[8:9], v[164:165]
	;; [unrolled: 1-line block ×3, first 2 shown]
	v_mul_f64 v[118:119], v[96:97], s[22:23]
	v_fma_f64 v[150:151], v[68:69], s[8:9], v[150:151]
	v_fma_f64 v[68:69], v[68:69], s[8:9], v[162:163]
	v_fma_f64 v[114:115], v[114:115], -0.5, v[34:35]
	v_fma_f64 v[156:157], v[166:167], s[8:9], v[156:157]
	v_fma_f64 v[160:161], v[166:167], s[8:9], v[160:161]
	;; [unrolled: 1-line block ×5, first 2 shown]
	v_add_f64 v[70:71], v[24:25], v[28:29]
	v_add_f64 v[178:179], v[28:29], -v[24:25]
	v_fma_f64 v[116:117], v[116:117], -0.5, v[34:35]
	v_fma_f64 v[170:171], v[66:67], s[22:23], v[172:173]
	v_add_f64 v[176:177], v[36:37], -v[0:1]
	v_fma_f64 v[172:173], v[54:55], s[8:9], v[174:175]
	v_add_f64 v[54:55], v[0:1], v[36:37]
	v_fma_f64 v[42:43], v[62:63], s[8:9], v[42:43]
	v_fma_f64 v[164:165], v[62:63], s[8:9], v[60:61]
	v_fma_f64 v[72:73], v[52:53], s[8:9], v[72:73]
	v_fma_f64 v[158:159], v[48:49], s[20:21], v[158:159]
	v_fma_f64 v[168:169], v[98:99], s[18:19], v[58:59]
	v_fma_f64 v[174:175], v[48:49], s[0:1], v[50:51]
	v_add_f64 v[98:99], v[148:149], v[152:153]
	v_add_f64 v[48:49], v[148:149], -v[152:153]
	v_add_f64 v[50:51], v[74:75], -v[104:105]
	v_add_f64 v[56:57], v[74:75], v[104:105]
	v_add_f64 v[58:59], v[110:111], v[106:107]
	v_fma_f64 v[118:119], v[66:67], s[6:7], v[118:119]
	v_add_f64 v[60:61], v[154:155], v[102:103]
	v_add_f64 v[52:53], v[110:111], -v[106:107]
	v_add_f64 v[66:67], v[12:13], v[20:21]
	v_add_f64 v[74:75], v[30:31], -v[26:27]
	v_fma_f64 v[70:71], v[70:71], -0.5, v[32:33]
	v_add_f64 v[104:105], v[38:39], -v[30:31]
	v_add_f64 v[106:107], v[8:9], v[16:17]
	v_add_f64 v[148:149], v[30:31], -v[38:39]
	v_add_f64 v[152:153], v[2:3], -v[26:27]
	;; [unrolled: 1-line block ×4, first 2 shown]
	v_fma_f64 v[186:187], v[54:55], -0.5, v[32:33]
	v_fma_f64 v[188:189], v[178:179], s[14:15], v[114:115]
	v_add_f64 v[54:55], v[154:155], -v[102:103]
	v_fma_f64 v[102:103], v[178:179], s[0:1], v[114:115]
	v_fma_f64 v[182:183], v[176:177], s[0:1], v[116:117]
	;; [unrolled: 1-line block ×3, first 2 shown]
	v_add_f64 v[96:97], v[112:113], v[108:109]
	v_add_f64 v[62:63], v[108:109], -v[112:113]
	v_add_f64 v[110:111], v[42:43], v[162:163]
	v_add_f64 v[112:113], v[42:43], -v[162:163]
	v_add_f64 v[42:43], v[16:17], v[4:5]
	v_add_f64 v[32:33], v[36:37], v[32:33]
	v_add_f64 v[154:155], v[22:23], -v[14:15]
	v_add_f64 v[162:163], v[36:37], -v[28:29]
	;; [unrolled: 1-line block ×3, first 2 shown]
	v_fma_f64 v[66:67], v[66:67], -0.5, v[4:5]
	v_add_f64 v[190:191], v[18:19], -v[10:11]
	v_add_f64 v[192:193], v[0:1], -v[24:25]
	v_fma_f64 v[4:5], v[106:107], -0.5, v[4:5]
	v_add_f64 v[106:107], v[24:25], -v[0:1]
	v_add_f64 v[104:105], v[152:153], v[104:105]
	v_fma_f64 v[152:153], v[180:181], s[14:15], v[70:71]
	v_add_f64 v[184:185], v[184:185], v[148:149]
	v_fma_f64 v[194:195], v[74:75], s[0:1], v[186:187]
	v_fma_f64 v[188:189], v[176:177], s[6:7], v[188:189]
	v_fma_f64 v[186:187], v[74:75], s[14:15], v[186:187]
	v_fma_f64 v[102:103], v[176:177], s[16:17], v[102:103]
	v_fma_f64 v[70:71], v[180:181], s[0:1], v[70:71]
	v_fma_f64 v[116:117], v[178:179], s[16:17], v[116:117]
	v_fma_f64 v[182:183], v[178:179], s[6:7], v[182:183]
	v_add_f64 v[114:115], v[150:151], -v[72:73]
	v_add_f64 v[149:150], v[150:151], v[72:73]
	v_add_f64 v[72:73], v[18:19], v[6:7]
	v_add_f64 v[28:29], v[28:29], v[32:33]
	v_add_f64 v[176:177], v[16:17], -v[20:21]
	v_add_f64 v[178:179], v[20:21], -v[16:17]
	;; [unrolled: 1-line block ×4, first 2 shown]
	v_fma_f64 v[198:199], v[190:191], s[14:15], v[66:67]
	v_fma_f64 v[66:67], v[190:191], s[0:1], v[66:67]
	v_fma_f64 v[200:201], v[154:155], s[0:1], v[4:5]
	v_add_f64 v[162:163], v[192:193], v[162:163]
	v_add_f64 v[106:107], v[106:107], v[36:37]
	v_fma_f64 v[192:193], v[74:75], s[16:17], v[152:153]
	v_fma_f64 v[4:5], v[154:155], s[14:15], v[4:5]
	;; [unrolled: 1-line block ×6, first 2 shown]
	v_add_f64 v[42:43], v[20:21], v[42:43]
	v_fma_f64 v[70:71], v[74:75], s[6:7], v[70:71]
	v_fma_f64 v[116:117], v[104:105], s[8:9], v[116:117]
	;; [unrolled: 1-line block ×3, first 2 shown]
	v_add_f64 v[108:109], v[44:45], v[64:65]
	v_add_f64 v[151:152], v[68:69], v[158:159]
	;; [unrolled: 1-line block ×3, first 2 shown]
	v_add_f64 v[34:35], v[64:65], -v[44:45]
	v_add_f64 v[36:37], v[68:69], -v[158:159]
	v_add_f64 v[44:45], v[22:23], v[72:73]
	v_add_f64 v[24:25], v[24:25], v[28:29]
	;; [unrolled: 1-line block ×3, first 2 shown]
	v_fma_f64 v[102:103], v[154:155], s[16:17], v[198:199]
	v_fma_f64 v[104:105], v[154:155], s[6:7], v[66:67]
	v_add_f64 v[153:154], v[202:203], v[178:179]
	v_fma_f64 v[158:159], v[190:191], s[16:17], v[200:201]
	v_fma_f64 v[176:177], v[162:163], s[8:9], v[192:193]
	;; [unrolled: 1-line block ×4, first 2 shown]
	v_mul_f64 v[192:193], v[188:189], s[14:15]
	v_fma_f64 v[180:181], v[106:107], s[8:9], v[180:181]
	v_mul_f64 v[106:107], v[184:185], s[14:15]
	v_add_f64 v[42:43], v[12:13], v[42:43]
	v_fma_f64 v[162:163], v[162:163], s[8:9], v[70:71]
	v_mul_f64 v[190:191], v[116:117], s[16:17]
	v_mul_f64 v[178:179], v[182:183], s[16:17]
	v_add_f64 v[32:33], v[164:165], v[170:171]
	v_add_f64 v[38:39], v[164:165], -v[170:171]
	v_add_f64 v[68:69], v[40:41], v[100:101]
	v_add_f64 v[70:71], v[156:157], v[168:169]
	v_add_f64 v[64:65], v[156:157], -v[168:169]
	v_add_f64 v[66:67], v[166:167], -v[172:173]
	v_add_f64 v[72:73], v[166:167], v[172:173]
	v_add_f64 v[155:156], v[14:15], v[22:23]
	v_fma_f64 v[164:165], v[28:29], s[8:9], v[102:103]
	v_add_f64 v[44:45], v[14:15], v[44:45]
	v_add_f64 v[166:167], v[10:11], v[18:19]
	v_fma_f64 v[157:158], v[153:154], s[8:9], v[158:159]
	v_add_f64 v[102:103], v[100:101], -v[40:41]
	v_fma_f64 v[40:41], v[153:154], s[8:9], v[4:5]
	v_add_f64 v[30:31], v[30:31], v[74:75]
	v_fma_f64 v[168:169], v[186:187], s[8:9], v[192:193]
	v_add_f64 v[0:1], v[0:1], v[24:25]
	;; [unrolled: 2-line block ×3, first 2 shown]
	v_fma_f64 v[28:29], v[28:29], s[8:9], v[104:105]
	v_fma_f64 v[170:171], v[162:163], s[22:23], v[190:191]
	;; [unrolled: 1-line block ×3, first 2 shown]
	v_add_f64 v[74:75], v[46:47], v[174:175]
	v_add_f64 v[104:105], v[46:47], -v[174:175]
	v_add_f64 v[46:47], v[20:21], -v[12:13]
	;; [unrolled: 1-line block ×5, first 2 shown]
	v_add_f64 v[100:101], v[160:161], v[118:119]
	v_add_f64 v[106:107], v[160:161], -v[118:119]
	v_add_f64 v[159:160], v[22:23], -v[18:19]
	v_add_f64 v[190:191], v[10:11], v[44:45]
	v_fma_f64 v[44:45], v[155:156], -0.5, v[6:7]
	v_fma_f64 v[155:156], v[166:167], -0.5, v[6:7]
	v_mul_u32_u24_e32 v20, 10, v120
	v_add_f64 v[26:27], v[26:27], v[30:31]
	v_add_f64 v[12:13], v[157:158], v[168:169]
	v_add_f64 v[30:31], v[18:19], -v[22:23]
	v_add_f64 v[14:15], v[40:41], v[153:154]
	v_add_f64 v[18:19], v[42:43], -v[0:1]
	v_add_f64 v[4:5], v[0:1], v[42:43]
	v_add_f64 v[16:17], v[28:29], v[170:171]
	;; [unrolled: 1-line block ×3, first 2 shown]
	v_mul_i32_i24_e32 v0, 10, v126
	v_lshl_add_u32 v192, v20, 3, 0
	ds_write_b128 v192, v[88:91]
	ds_write_b128 v192, v[92:95] offset:16
	ds_write_b128 v192, v[84:87] offset:32
	v_lshl_add_u32 v119, v0, 3, 0
	v_mul_i32_i24_e32 v0, 10, v132
	v_add_f64 v[8:9], v[164:165], -v[24:25]
	v_add_f64 v[20:21], v[40:41], -v[153:154]
	;; [unrolled: 1-line block ×3, first 2 shown]
	ds_write_b128 v192, v[76:79] offset:48
	v_lshl_add_u32 v148, v0, 3, 0
	s_load_dwordx2 s[4:5], s[4:5], 0x0
	ds_write_b128 v192, v[80:83] offset:64
	ds_write_b128 v119, v[108:111]
	ds_write_b128 v119, v[149:152] offset:16
	ds_write_b128 v119, v[32:35] offset:32
	;; [unrolled: 1-line block ×4, first 2 shown]
	ds_write_b128 v148, v[4:7]
	v_fma_f64 v[24:25], v[172:173], s[0:1], v[44:45]
	ds_write_b128 v148, v[12:15] offset:16
	ds_write_b128 v148, v[16:19] offset:32
	v_fma_f64 v[12:13], v[46:47], s[14:15], v[155:156]
	v_fma_f64 v[14:15], v[46:47], s[0:1], v[155:156]
	;; [unrolled: 1-line block ×3, first 2 shown]
	v_add_f64 v[164:165], v[2:3], v[26:27]
	v_add_f64 v[18:19], v[174:175], v[30:31]
	v_mul_f64 v[26:27], v[186:187], s[0:1]
	v_mul_f64 v[28:29], v[184:185], s[20:21]
	;; [unrolled: 1-line block ×3, first 2 shown]
	v_add_f64 v[10:11], v[157:158], -v[168:169]
	v_mad_i32_i24 v149, 0xffffffb8, v120, v192
	v_lshl_add_u32 v150, v146, 3, 0
	v_mad_i32_i24 v137, 0xffffffb8, v126, v119
	v_and_b32_e32 v158, 0xff, v120
	ds_write_b128 v148, v[20:23] offset:64
	v_mul_f64 v[22:23], v[176:177], s[6:7]
	v_add_nc_u32_e32 v111, 0x2800, v149
	v_add_nc_u32_e32 v109, 0x100, v149
	;; [unrolled: 1-line block ×3, first 2 shown]
	v_lshl_add_u32 v151, v135, 3, 0
	v_mad_i32_i24 v131, 0xffffffb8, v132, v148
	v_fma_f64 v[20:21], v[46:47], s[6:7], v[24:25]
	v_add_f64 v[24:25], v[178:179], v[159:160]
	v_fma_f64 v[12:13], v[172:173], s[6:7], v[12:13]
	v_fma_f64 v[14:15], v[172:173], s[16:17], v[14:15]
	;; [unrolled: 1-line block ×3, first 2 shown]
	v_add_nc_u32_e32 v154, 0x3000, v149
	v_add_nc_u32_e32 v153, 0x4800, v149
	v_fma_f64 v[117:118], v[188:189], s[8:9], v[26:27]
	v_fma_f64 v[168:169], v[180:181], s[0:1], v[28:29]
	;; [unrolled: 1-line block ×3, first 2 shown]
	v_add_nc_u32_e32 v114, 0x4c00, v149
	v_lshl_add_u32 v155, v142, 3, 0
	v_add_nc_u32_e32 v113, 0x1400, v149
	v_lshl_add_u32 v156, v144, 3, 0
	v_add_nc_u32_e32 v112, 0x2000, v149
	ds_write_b128 v148, v[8:11] offset:48
	v_fma_f64 v[94:95], v[182:183], s[18:19], v[22:23]
	s_waitcnt lgkmcnt(0)
	s_barrier
	buffer_gl0_inv
	ds_read2st64_b64 v[4:7], v149 offset1:9
	ds_read2_b64 v[8:11], v111 offset0:64 offset1:160
	ds_read2_b64 v[32:35], v152 offset0:128 offset1:224
	ds_read2_b64 v[0:3], v153 offset1:96
	v_fma_f64 v[92:93], v[18:19], s[8:9], v[20:21]
	ds_read_b64 v[82:83], v137
	ds_read_b64 v[76:77], v131
	v_fma_f64 v[115:116], v[24:25], s[8:9], v[12:13]
	v_fma_f64 v[166:167], v[24:25], s[8:9], v[14:15]
	;; [unrolled: 1-line block ×3, first 2 shown]
	v_add_nc_u32_e32 v110, 0x4000, v149
	v_add_nc_u32_e32 v108, 0x3400, v149
	;; [unrolled: 1-line block ×3, first 2 shown]
	ds_read_b64 v[86:87], v150
	ds_read_b64 v[84:85], v151
	;; [unrolled: 1-line block ×4, first 2 shown]
	ds_read2st64_b64 v[20:23], v109 offset0:13 offset1:16
	ds_read2_b64 v[44:47], v154 offset1:96
	ds_read2_b64 v[40:43], v114 offset0:64 offset1:160
	ds_read2_b64 v[36:39], v113 offset0:32 offset1:128
	;; [unrolled: 1-line block ×6, first 2 shown]
	s_waitcnt lgkmcnt(0)
	s_barrier
	buffer_gl0_inv
	ds_write_b128 v192, v[96:99]
	v_add_f64 v[88:89], v[164:165], v[190:191]
	v_add_f64 v[160:161], v[190:191], -v[164:165]
	ds_write_b128 v192, v[56:59] offset:16
	ds_write_b128 v192, v[60:63] offset:32
	;; [unrolled: 1-line block ×4, first 2 shown]
	ds_write_b128 v119, v[68:71]
	ds_write_b128 v119, v[72:75] offset:16
	v_mov_b32_e32 v75, 5
	v_mov_b32_e32 v52, 0xcccd
	v_add_f64 v[90:91], v[92:93], v[94:95]
	v_add_f64 v[92:93], v[92:93], -v[94:95]
	v_add_f64 v[94:95], v[115:116], -v[117:118]
	v_add_f64 v[96:97], v[115:116], v[117:118]
	v_mul_lo_u16 v115, 0xcd, v158
	v_add_f64 v[162:163], v[166:167], -v[168:169]
	v_add_f64 v[164:165], v[170:171], -v[172:173]
	v_add_f64 v[98:99], v[166:167], v[168:169]
	v_add_f64 v[158:159], v[170:171], v[172:173]
	v_lshrrev_b16 v116, 11, v115
	v_and_b32_e32 v115, 0xff, v126
	ds_write_b128 v119, v[100:103] offset:32
	ds_write_b128 v119, v[64:67] offset:48
	;; [unrolled: 1-line block ×3, first 2 shown]
	ds_write_b128 v148, v[88:91]
	ds_write_b128 v148, v[96:99] offset:16
	ds_write_b128 v148, v[158:161] offset:32
	;; [unrolled: 1-line block ×3, first 2 shown]
	v_mul_lo_u16 v48, v116, 10
	v_mul_lo_u16 v49, 0xcd, v115
	ds_write_b128 v148, v[162:165] offset:64
	s_waitcnt lgkmcnt(0)
	s_barrier
	v_sub_nc_u16 v60, v120, v48
	v_lshrrev_b16 v54, 11, v49
	v_mul_u32_u24_sdwa v49, v132, v52 dst_sel:DWORD dst_unused:UNUSED_PAD src0_sel:WORD_0 src1_sel:DWORD
	buffer_gl0_inv
	s_mov_b32 s6, 0xe8584caa
	v_mul_u32_u24_sdwa v48, v60, v75 dst_sel:DWORD dst_unused:UNUSED_PAD src0_sel:BYTE_0 src1_sel:DWORD
	v_mul_lo_u16 v50, v54, 10
	v_lshrrev_b32_e32 v55, 19, v49
	s_mov_b32 s7, 0xbfebb67a
	s_mov_b32 s9, 0x3febb67a
	v_lshlrev_b32_e32 v53, 4, v48
	v_sub_nc_u16 v59, v126, v50
	v_mul_lo_u16 v56, v55, 10
	s_mov_b32 s8, s6
	v_cmp_gt_u32_e64 s0, 60, v120
	global_load_dwordx4 v[48:51], v53, s[12:13] offset:48
	v_mul_u32_u24_sdwa v57, v59, v75 dst_sel:DWORD dst_unused:UNUSED_PAD src0_sel:BYTE_0 src1_sel:DWORD
	v_sub_nc_u16 v56, v132, v56
	v_lshlrev_b32_e32 v62, 4, v57
	v_mul_u32_u24_sdwa v57, v56, v75 dst_sel:DWORD dst_unused:UNUSED_PAD src0_sel:WORD_0 src1_sel:DWORD
	s_clause 0x1
	global_load_dwordx4 v[63:66], v62, s[12:13] offset:48
	global_load_dwordx4 v[69:72], v62, s[12:13] offset:32
	v_lshlrev_b32_e32 v61, 4, v57
	v_mul_u32_u24_sdwa v57, v142, v52 dst_sel:DWORD dst_unused:UNUSED_PAD src0_sel:WORD_0 src1_sel:DWORD
	global_load_dwordx4 v[92:95], v62, s[12:13] offset:64
	v_mul_u32_u24_sdwa v52, v144, v52 dst_sel:DWORD dst_unused:UNUSED_PAD src0_sel:WORD_0 src1_sel:DWORD
	s_clause 0x2
	global_load_dwordx4 v[96:99], v61, s[12:13] offset:64
	global_load_dwordx4 v[88:91], v61, s[12:13] offset:32
	global_load_dwordx4 v[100:103], v61, s[12:13]
	v_lshrrev_b32_e32 v57, 19, v57
	v_mul_lo_u16 v58, v57, 10
	v_sub_nc_u16 v58, v142, v58
	v_mul_u32_u24_sdwa v67, v58, v75 dst_sel:DWORD dst_unused:UNUSED_PAD src0_sel:WORD_0 src1_sel:DWORD
	v_lshlrev_b32_e32 v67, 4, v67
	s_clause 0x9
	global_load_dwordx4 v[104:107], v67, s[12:13]
	global_load_dwordx4 v[158:161], v53, s[12:13] offset:32
	global_load_dwordx4 v[162:165], v53, s[12:13] offset:64
	global_load_dwordx4 v[166:169], v61, s[12:13] offset:16
	global_load_dwordx4 v[170:173], v67, s[12:13] offset:16
	global_load_dwordx4 v[174:177], v53, s[12:13]
	global_load_dwordx4 v[178:181], v53, s[12:13] offset:16
	global_load_dwordx4 v[182:185], v62, s[12:13]
	global_load_dwordx4 v[186:189], v61, s[12:13] offset:48
	global_load_dwordx4 v[190:193], v67, s[12:13] offset:48
	v_lshrrev_b32_e32 v61, 19, v52
	global_load_dwordx4 v[194:197], v62, s[12:13] offset:16
	v_mul_lo_u16 v52, v61, 10
	v_sub_nc_u16 v62, v144, v52
	v_mul_u32_u24_sdwa v52, v62, v75 dst_sel:DWORD dst_unused:UNUSED_PAD src0_sel:WORD_0 src1_sel:DWORD
	v_lshlrev_b32_e32 v52, 4, v52
	s_clause 0x6
	global_load_dwordx4 v[198:201], v52, s[12:13]
	global_load_dwordx4 v[202:205], v52, s[12:13] offset:16
	global_load_dwordx4 v[206:209], v67, s[12:13] offset:32
	;; [unrolled: 1-line block ×6, first 2 shown]
	ds_read2_b64 v[226:229], v152 offset0:128 offset1:224
	ds_read2_b64 v[230:233], v154 offset1:96
	ds_read2_b64 v[234:237], v114 offset0:64 offset1:160
	ds_read2_b64 v[238:241], v113 offset0:32 offset1:128
	s_waitcnt vmcnt(24) lgkmcnt(3)
	v_mul_f64 v[52:53], v[226:227], v[50:51]
	v_mul_f64 v[50:51], v[32:33], v[50:51]
	s_waitcnt vmcnt(23)
	v_mul_f64 v[67:68], v[228:229], v[65:66]
	v_mul_f64 v[73:74], v[34:35], v[65:66]
	s_waitcnt vmcnt(22) lgkmcnt(2)
	v_mul_f64 v[117:118], v[230:231], v[71:72]
	v_mul_f64 v[71:72], v[44:45], v[71:72]
	s_waitcnt vmcnt(19)
	v_mul_f64 v[242:243], v[232:233], v[90:91]
	v_fma_f64 v[52:53], v[32:33], v[48:49], v[52:53]
	v_fma_f64 v[32:33], v[226:227], v[48:49], -v[50:51]
	v_mul_f64 v[48:49], v[46:47], v[90:91]
	v_mul_f64 v[90:91], v[42:43], v[98:99]
	v_mul_f64 v[50:51], v[40:41], v[94:95]
	v_fma_f64 v[65:66], v[34:35], v[63:64], v[67:68]
	v_fma_f64 v[67:68], v[228:229], v[63:64], -v[73:74]
	s_waitcnt lgkmcnt(1)
	v_mul_f64 v[34:35], v[234:235], v[94:95]
	v_fma_f64 v[63:64], v[44:45], v[69:70], v[117:118]
	v_fma_f64 v[71:72], v[230:231], v[69:70], -v[71:72]
	v_mul_f64 v[73:74], v[236:237], v[98:99]
	ds_read2_b64 v[226:229], v111 offset0:64 offset1:160
	s_waitcnt vmcnt(16)
	v_mul_f64 v[98:99], v[10:11], v[160:161]
	v_fma_f64 v[44:45], v[46:47], v[88:89], v[242:243]
	s_waitcnt lgkmcnt(1)
	v_mul_f64 v[46:47], v[238:239], v[102:103]
	ds_read2_b64 v[242:245], v112 offset0:128 offset1:224
	ds_read2_b64 v[246:249], v153 offset1:96
	v_mul_f64 v[94:95], v[240:241], v[106:107]
	v_fma_f64 v[69:70], v[232:233], v[88:89], -v[48:49]
	v_mul_f64 v[88:89], v[36:37], v[102:103]
	s_waitcnt vmcnt(15)
	v_mul_f64 v[102:103], v[2:3], v[164:165]
	v_fma_f64 v[48:49], v[236:237], v[96:97], -v[90:91]
	v_fma_f64 v[50:51], v[234:235], v[92:93], -v[50:51]
	ds_read_b64 v[234:235], v150
	ds_read2_b64 v[230:233], v110 offset0:64 offset1:160
	v_fma_f64 v[117:118], v[40:41], v[92:93], v[34:35]
	v_mul_f64 v[92:93], v[38:39], v[106:107]
	s_waitcnt lgkmcnt(4)
	v_mul_f64 v[160:161], v[228:229], v[160:161]
	v_fma_f64 v[40:41], v[42:43], v[96:97], v[73:74]
	s_waitcnt vmcnt(14) lgkmcnt(3)
	v_mul_f64 v[96:97], v[242:243], v[168:169]
	s_waitcnt lgkmcnt(2)
	v_mul_f64 v[164:165], v[248:249], v[164:165]
	v_fma_f64 v[42:43], v[36:37], v[100:101], v[46:47]
	v_mul_f64 v[46:47], v[28:29], v[168:169]
	ds_read_b64 v[168:169], v151
	s_waitcnt vmcnt(13)
	v_mul_f64 v[236:237], v[244:245], v[172:173]
	v_mul_f64 v[172:173], v[30:31], v[172:173]
	v_fma_f64 v[36:37], v[228:229], v[158:159], -v[98:99]
	s_waitcnt vmcnt(12)
	v_mul_f64 v[228:229], v[86:87], v[176:177]
	v_fma_f64 v[34:35], v[248:249], v[162:163], -v[102:103]
	v_fma_f64 v[73:74], v[238:239], v[100:101], -v[88:89]
	v_fma_f64 v[38:39], v[38:39], v[104:105], v[94:95]
	s_waitcnt lgkmcnt(2)
	v_mul_f64 v[102:103], v[234:235], v[176:177]
	v_fma_f64 v[88:89], v[240:241], v[104:105], -v[92:93]
	v_fma_f64 v[10:11], v[10:11], v[158:159], v[160:161]
	ds_read2st64_b64 v[104:107], v109 offset0:13 offset1:16
	ds_read_b64 v[92:93], v155
	ds_read_b64 v[90:91], v156
	v_fma_f64 v[94:95], v[28:29], v[166:167], v[96:97]
	v_fma_f64 v[2:3], v[2:3], v[162:163], v[164:165]
	s_waitcnt vmcnt(11) lgkmcnt(3)
	v_mul_f64 v[163:164], v[168:169], v[180:181]
	v_fma_f64 v[100:101], v[242:243], v[166:167], -v[46:47]
	s_waitcnt vmcnt(10)
	v_mul_f64 v[46:47], v[6:7], v[184:185]
	v_fma_f64 v[96:97], v[30:31], v[170:171], v[236:237]
	v_fma_f64 v[98:99], v[244:245], v[170:171], -v[172:173]
	s_waitcnt vmcnt(9)
	v_mul_f64 v[165:166], v[230:231], v[188:189]
	v_mul_f64 v[170:171], v[24:25], v[188:189]
	s_waitcnt vmcnt(8)
	v_mul_f64 v[172:173], v[232:233], v[192:193]
	v_fma_f64 v[176:177], v[234:235], v[174:175], -v[228:229]
	v_add_f64 v[188:189], v[36:37], v[34:35]
	ds_read2st64_b64 v[159:162], v149 offset1:9
	v_mul_f64 v[192:193], v[26:27], v[192:193]
	v_fma_f64 v[174:175], v[86:87], v[174:175], v[102:103]
	v_mul_f64 v[180:181], v[84:85], v[180:181]
	ds_read2_b64 v[28:31], v108 offset0:64 offset1:160
	v_mov_b32_e32 v158, 3
	s_waitcnt vmcnt(7) lgkmcnt(4)
	v_mul_f64 v[228:229], v[106:107], v[196:197]
	v_lshlrev_b32_sdwa v60, v158, v60 dst_sel:DWORD dst_unused:UNUSED_PAD src0_sel:DWORD src1_sel:BYTE_0
	v_add_f64 v[234:235], v[10:11], v[2:3]
	v_fma_f64 v[163:164], v[84:85], v[178:179], v[163:164]
	v_lshlrev_b32_sdwa v56, v158, v56 dst_sel:DWORD dst_unused:UNUSED_PAD src0_sel:DWORD src1_sel:WORD_0
	v_fma_f64 v[102:103], v[230:231], v[186:187], -v[170:171]
	v_mul_f64 v[170:171], v[22:23], v[196:197]
	s_waitcnt lgkmcnt(1)
	v_mul_f64 v[184:185], v[161:162], v[184:185]
	v_fma_f64 v[84:85], v[161:162], v[182:183], -v[46:47]
	v_add_f64 v[46:47], v[71:72], v[50:51]
	v_fma_f64 v[161:162], v[24:25], v[186:187], v[165:166]
	v_fma_f64 v[165:166], v[26:27], v[190:191], v[172:173]
	v_add_f64 v[24:25], v[10:11], -v[2:3]
	v_fma_f64 v[26:27], v[188:189], -0.5, v[176:177]
	s_waitcnt vmcnt(5)
	v_mul_f64 v[188:189], v[226:227], v[204:205]
	v_fma_f64 v[86:87], v[232:233], v[190:191], -v[192:193]
	v_mul_f64 v[172:173], v[104:105], v[200:201]
	v_mul_f64 v[186:187], v[20:21], v[200:201]
	v_fma_f64 v[190:191], v[22:23], v[194:195], v[228:229]
	v_mul_f64 v[22:23], v[8:9], v[204:205]
	s_waitcnt vmcnt(4) lgkmcnt(0)
	v_mul_f64 v[192:193], v[28:29], v[208:209]
	v_fma_f64 v[167:168], v[168:169], v[178:179], -v[180:181]
	v_add_f64 v[180:181], v[163:164], v[52:53]
	v_add_f64 v[196:197], v[63:64], -v[117:118]
	v_add_f64 v[200:201], v[36:37], -v[34:35]
	v_add_f64 v[10:11], v[174:175], v[10:11]
	v_add_f64 v[36:37], v[176:177], v[36:37]
	v_fma_f64 v[106:107], v[106:107], v[194:195], -v[170:171]
	v_fma_f64 v[178:179], v[6:7], v[182:183], v[184:185]
	v_fma_f64 v[182:183], v[234:235], -0.5, v[174:175]
	v_add_f64 v[184:185], v[63:64], v[117:118]
	v_fma_f64 v[46:47], v[46:47], -0.5, v[84:85]
	v_mov_b32_e32 v175, 0x1e0
	v_fma_f64 v[204:205], v[24:25], s[8:9], v[26:27]
	v_fma_f64 v[24:25], v[24:25], s[6:7], v[26:27]
	v_mul_f64 v[26:27], v[16:17], v[208:209]
	v_fma_f64 v[169:170], v[8:9], v[202:203], v[188:189]
	ds_read2_b64 v[6:9], v157 offset0:128 offset1:224
	v_fma_f64 v[20:21], v[20:21], v[198:199], v[172:173]
	v_fma_f64 v[104:105], v[104:105], v[198:199], -v[186:187]
	v_fma_f64 v[171:172], v[226:227], v[202:203], -v[22:23]
	s_waitcnt vmcnt(3)
	v_mul_f64 v[22:23], v[30:31], v[212:213]
	v_mul_f64 v[186:187], v[18:19], v[212:213]
	v_fma_f64 v[16:17], v[16:17], v[206:207], v[192:193]
	s_waitcnt vmcnt(2)
	v_mul_f64 v[188:189], v[12:13], v[216:217]
	v_fma_f64 v[180:181], v[180:181], -0.5, v[4:5]
	v_add_f64 v[192:193], v[71:72], -v[50:51]
	v_add_f64 v[198:199], v[190:191], v[65:66]
	v_add_f64 v[4:5], v[4:5], v[163:164]
	v_add_f64 v[208:209], v[167:168], -v[32:33]
	v_fma_f64 v[173:174], v[200:201], s[6:7], v[182:183]
	v_fma_f64 v[184:185], v[184:185], -0.5, v[178:179]
	v_fma_f64 v[194:195], v[196:197], s[8:9], v[46:47]
	s_waitcnt vmcnt(0)
	v_mul_f64 v[226:227], v[14:15], v[224:225]
	v_mul_f64 v[212:213], v[246:247], v[220:221]
	;; [unrolled: 1-line block ×3, first 2 shown]
	v_fma_f64 v[182:183], v[200:201], s[8:9], v[182:183]
	v_fma_f64 v[206:207], v[28:29], v[206:207], -v[26:27]
	s_waitcnt lgkmcnt(0)
	v_mul_f64 v[26:27], v[8:9], v[224:225]
	v_mul_f64 v[216:217], v[6:7], v[216:217]
	;; [unrolled: 1-line block ×4, first 2 shown]
	v_add_f64 v[28:29], v[82:83], v[190:191]
	v_fma_f64 v[18:19], v[18:19], v[210:211], v[22:23]
	v_fma_f64 v[186:187], v[30:31], v[210:211], -v[186:187]
	v_add_f64 v[22:23], v[167:168], v[32:33]
	v_fma_f64 v[188:189], v[6:7], v[214:215], -v[188:189]
	v_add_f64 v[6:7], v[178:179], v[63:64]
	v_add_f64 v[2:3], v[10:11], v[2:3]
	v_fma_f64 v[63:64], v[198:199], -0.5, v[82:83]
	v_add_f64 v[82:83], v[106:107], -v[67:68]
	v_add_f64 v[4:5], v[4:5], v[52:53]
	v_fma_f64 v[198:199], v[208:209], s[6:7], v[180:181]
	v_fma_f64 v[178:179], v[192:193], s[6:7], v[184:185]
	v_mul_f64 v[30:31], v[194:195], s[6:7]
	v_fma_f64 v[210:211], v[8:9], v[222:223], -v[226:227]
	v_fma_f64 v[8:9], v[208:209], s[8:9], v[180:181]
	v_fma_f64 v[10:11], v[173:174], 0.5, v[202:203]
	v_fma_f64 v[202:203], v[0:1], v[218:219], v[212:213]
	v_fma_f64 v[196:197], v[196:197], s[6:7], v[46:47]
	;; [unrolled: 1-line block ×3, first 2 shown]
	v_add_f64 v[26:27], v[69:70], v[48:49]
	v_fma_f64 v[0:1], v[12:13], v[214:215], v[216:217]
	v_fma_f64 v[12:13], v[182:183], -0.5, v[200:201]
	v_mul_u32_u24_sdwa v200, v116, v175 dst_sel:DWORD dst_unused:UNUSED_PAD src0_sel:WORD_0 src1_sel:DWORD
	v_fma_f64 v[212:213], v[246:247], v[218:219], -v[220:221]
	v_add_f64 v[28:29], v[28:29], v[65:66]
	v_fma_f64 v[22:23], v[22:23], -0.5, v[159:160]
	v_add_f64 v[159:160], v[159:160], v[167:168]
	v_add_f64 v[6:7], v[6:7], v[117:118]
	;; [unrolled: 1-line block ×3, first 2 shown]
	v_add3_u32 v118, 0, v200, v60
	v_fma_f64 v[180:181], v[82:83], s[6:7], v[63:64]
	v_add_f64 v[167:168], v[4:5], v[2:3]
	v_add_f64 v[216:217], v[44:45], v[40:41]
	v_add_f64 v[218:219], v[44:45], -v[40:41]
	v_fma_f64 v[30:31], v[178:179], 0.5, v[30:31]
	v_add_f64 v[200:201], v[186:187], v[210:211]
	ds_read_b64 v[208:209], v137
	ds_read_b64 v[214:215], v131
	v_add_f64 v[46:47], v[198:199], v[10:11]
	v_add_f64 v[2:3], v[4:5], -v[2:3]
	v_add_f64 v[10:11], v[198:199], -v[10:11]
	s_waitcnt lgkmcnt(0)
	v_fma_f64 v[26:27], v[26:27], -0.5, v[73:74]
	s_barrier
	v_add_f64 v[4:5], v[8:9], v[12:13]
	v_add_f64 v[8:9], v[8:9], -v[12:13]
	v_add_f64 v[198:199], v[16:17], v[0:1]
	v_add_f64 v[220:221], v[16:17], -v[0:1]
	buffer_gl0_inv
	v_fma_f64 v[184:185], v[192:193], s[8:9], v[184:185]
	v_add_f64 v[12:13], v[28:29], v[6:7]
	v_fma_f64 v[116:117], v[116:117], -0.5, v[88:89]
	v_mul_f64 v[192:193], v[196:197], s[6:7]
	v_mul_u32_u24_sdwa v54, v54, v175 dst_sel:DWORD dst_unused:UNUSED_PAD src0_sel:WORD_0 src1_sel:DWORD
	v_add_f64 v[224:225], v[94:95], v[161:162]
	v_lshlrev_b32_sdwa v175, v158, v59 dst_sel:DWORD dst_unused:UNUSED_PAD src0_sel:DWORD src1_sel:BYTE_0
	v_fma_f64 v[59:60], v[216:217], -0.5, v[42:43]
	v_add_f64 v[222:223], v[180:181], v[30:31]
	v_fma_f64 v[200:201], v[200:201], -0.5, v[104:105]
	v_add_f64 v[216:217], v[69:70], -v[48:49]
	ds_write2_b64 v118, v[167:168], v[46:47] offset1:10
	v_add_f64 v[46:47], v[18:19], v[14:15]
	v_add_f64 v[167:168], v[18:19], -v[14:15]
	v_add3_u32 v234, 0, v54, v175
	v_fma_f64 v[226:227], v[218:219], s[8:9], v[26:27]
	ds_write2_b64 v118, v[4:5], v[2:3] offset0:20 offset1:30
	ds_write2_b64 v118, v[10:11], v[8:9] offset0:40 offset1:50
	v_fma_f64 v[218:219], v[218:219], s[6:7], v[26:27]
	v_add_f64 v[2:3], v[96:97], v[165:166]
	v_fma_f64 v[4:5], v[198:199], -0.5, v[38:39]
	v_add_f64 v[8:9], v[206:207], -v[188:189]
	v_fma_f64 v[10:11], v[82:83], s[8:9], v[63:64]
	v_add_f64 v[26:27], v[169:170], v[202:203]
	v_fma_f64 v[198:199], v[220:221], s[8:9], v[116:117]
	v_fma_f64 v[82:83], v[220:221], s[6:7], v[116:117]
	v_add_f64 v[63:64], v[186:187], -v[210:211]
	v_add_f64 v[42:43], v[42:43], v[44:45]
	v_fma_f64 v[44:45], v[224:225], -0.5, v[76:77]
	v_add_f64 v[220:221], v[100:101], -v[102:103]
	ds_write2_b64 v234, v[12:13], v[222:223] offset1:10
	v_fma_f64 v[12:13], v[184:185], -0.5, v[192:193]
	v_fma_f64 v[192:193], v[216:217], s[6:7], v[59:60]
	v_add_f64 v[76:77], v[76:77], v[94:95]
	v_fma_f64 v[46:47], v[46:47], -0.5, v[20:21]
	v_fma_f64 v[116:117], v[167:168], s[8:9], v[200:201]
	v_fma_f64 v[167:168], v[167:168], s[6:7], v[200:201]
	v_mul_f64 v[200:201], v[226:227], s[6:7]
	v_add_f64 v[16:17], v[38:39], v[16:17]
	v_add_f64 v[38:39], v[80:81], v[96:97]
	v_add_f64 v[6:7], v[28:29], -v[6:7]
	v_fma_f64 v[2:3], v[2:3], -0.5, v[80:81]
	v_add_f64 v[224:225], v[98:99], -v[86:87]
	v_fma_f64 v[80:81], v[8:9], s[6:7], v[4:5]
	v_fma_f64 v[228:229], v[8:9], s[8:9], v[4:5]
	v_add_f64 v[8:9], v[20:21], v[18:19]
	v_fma_f64 v[18:19], v[26:27], -0.5, v[78:79]
	v_add_f64 v[20:21], v[78:79], v[169:170]
	v_fma_f64 v[216:217], v[216:217], s[8:9], v[59:60]
	v_add_f64 v[28:29], v[42:43], v[40:41]
	v_mul_f64 v[59:60], v[218:219], s[6:7]
	v_add_f64 v[30:31], v[180:181], -v[30:31]
	v_add_f64 v[163:164], v[163:164], -v[52:53]
	v_mul_f64 v[222:223], v[198:199], s[6:7]
	v_mul_f64 v[4:5], v[82:83], s[6:7]
	v_add_f64 v[40:41], v[76:77], v[161:162]
	v_fma_f64 v[78:79], v[63:64], s[6:7], v[46:47]
	v_fma_f64 v[232:233], v[63:64], s[8:9], v[46:47]
	;; [unrolled: 1-line block ×3, first 2 shown]
	v_fma_f64 v[42:43], v[192:193], 0.5, v[200:201]
	v_add_f64 v[76:77], v[10:11], v[12:13]
	v_add_f64 v[10:11], v[10:11], -v[12:13]
	v_mul_f64 v[26:27], v[116:117], s[6:7]
	v_add_f64 v[230:231], v[171:172], -v[212:213]
	v_mul_f64 v[46:47], v[167:168], s[6:7]
	v_mul_u32_u24_e32 v175, 0x1e0, v55
	v_fma_f64 v[54:55], v[224:225], s[6:7], v[2:3]
	v_fma_f64 v[2:3], v[224:225], s[8:9], v[2:3]
	;; [unrolled: 1-line block ×3, first 2 shown]
	v_add_f64 v[0:1], v[16:17], v[0:1]
	v_add3_u32 v224, 0, v175, v56
	v_add_f64 v[16:17], v[38:39], v[165:166]
	v_fma_f64 v[59:60], v[216:217], -0.5, v[59:60]
	v_add_f64 v[8:9], v[8:9], v[14:15]
	v_fma_f64 v[175:176], v[163:164], s[8:9], v[22:23]
	v_fma_f64 v[38:39], v[80:81], 0.5, v[222:223]
	v_fma_f64 v[4:5], v[228:229], -0.5, v[4:5]
	v_add_f64 v[12:13], v[40:41], v[28:29]
	v_add_f64 v[14:15], v[20:21], v[202:203]
	v_add_f64 v[28:29], v[40:41], -v[28:29]
	v_fma_f64 v[163:164], v[163:164], s[6:7], v[22:23]
	v_add_f64 v[180:181], v[63:64], v[42:43]
	v_add_f64 v[42:43], v[63:64], -v[42:43]
	v_mul_f64 v[63:64], v[204:205], 0.5
	ds_write2_b64 v234, v[76:77], v[6:7] offset0:20 offset1:30
	ds_write2_b64 v234, v[30:31], v[10:11] offset0:40 offset1:50
	ds_write2_b64 v224, v[12:13], v[180:181] offset1:10
	v_add_f64 v[76:77], v[159:160], v[32:33]
	v_add_f64 v[159:160], v[36:37], v[34:35]
	v_mul_u32_u24_e32 v6, 0x1e0, v57
	v_fma_f64 v[173:174], v[173:174], s[8:9], v[63:64]
	v_lshlrev_b32_sdwa v7, v158, v58 dst_sel:DWORD dst_unused:UNUSED_PAD src0_sel:DWORD src1_sel:WORD_0
	v_fma_f64 v[20:21], v[78:79], 0.5, v[26:27]
	v_fma_f64 v[26:27], v[230:231], s[6:7], v[18:19]
	v_fma_f64 v[18:19], v[230:231], s[8:9], v[18:19]
	v_fma_f64 v[46:47], v[232:233], -0.5, v[46:47]
	v_add3_u32 v177, 0, v6, v7
	v_mul_f64 v[6:7], v[24:25], -0.5
	v_add_f64 v[204:205], v[208:209], v[106:107]
	v_add_f64 v[106:107], v[106:107], v[67:68]
	;; [unrolled: 1-line block ×3, first 2 shown]
	v_add_f64 v[44:45], v[44:45], -v[59:60]
	v_add_f64 v[59:60], v[16:17], v[0:1]
	v_add_f64 v[52:53], v[54:55], v[38:39]
	v_add_f64 v[0:1], v[16:17], -v[0:1]
	v_add_f64 v[16:17], v[2:3], v[4:5]
	v_add_f64 v[38:39], v[54:55], -v[38:39]
	v_add_f64 v[2:3], v[2:3], -v[4:5]
	v_add_f64 v[4:5], v[14:15], v[8:9]
	v_add_f64 v[8:9], v[14:15], -v[8:9]
	v_add_f64 v[180:181], v[76:77], v[159:160]
	v_add_f64 v[220:221], v[100:101], v[102:103]
	;; [unrolled: 1-line block ×4, first 2 shown]
	v_add_f64 v[65:66], v[190:191], -v[65:66]
	v_add_f64 v[54:55], v[26:27], v[20:21]
	v_add_f64 v[20:21], v[26:27], -v[20:21]
	v_add_f64 v[14:15], v[18:19], v[46:47]
	v_add_f64 v[18:19], v[18:19], -v[46:47]
	v_fma_f64 v[182:183], v[182:183], s[8:9], v[6:7]
	v_mul_u32_u24_e32 v10, 0x1e0, v61
	v_fma_f64 v[84:85], v[106:107], -0.5, v[208:209]
	v_mul_f64 v[106:107], v[194:195], 0.5
	v_lshlrev_b32_sdwa v11, v158, v62 dst_sel:DWORD dst_unused:UNUSED_PAD src0_sel:DWORD src1_sel:WORD_0
	v_add_f64 v[222:223], v[98:99], v[86:87]
	v_add_f64 v[76:77], v[76:77], -v[159:160]
	v_add_f64 v[159:160], v[175:176], -v[173:174]
	v_add_f64 v[175:176], v[171:172], v[212:213]
	v_add3_u32 v225, 0, v10, v11
	ds_write2_b64 v224, v[40:41], v[28:29] offset0:20 offset1:30
	ds_write2_b64 v224, v[42:43], v[44:45] offset0:40 offset1:50
	ds_write2_b64 v177, v[59:60], v[52:53] offset1:10
	ds_write2_b64 v177, v[16:17], v[0:1] offset0:20 offset1:30
	ds_write2_b64 v177, v[38:39], v[2:3] offset0:40 offset1:50
	ds_write2_b64 v225, v[4:5], v[54:55] offset1:10
	ds_write2_b64 v225, v[14:15], v[8:9] offset0:20 offset1:30
	ds_write2_b64 v225, v[20:21], v[18:19] offset0:40 offset1:50
	s_waitcnt lgkmcnt(0)
	s_barrier
	buffer_gl0_inv
	ds_read_b64 v[59:60], v137
	ds_read_b64 v[57:58], v131
	;; [unrolled: 1-line block ×6, first 2 shown]
	ds_read2st64_b64 v[12:15], v149 offset1:9
	ds_read2_b64 v[8:11], v111 offset0:64 offset1:160
	ds_read2_b64 v[40:43], v152 offset0:128 offset1:224
	ds_read2_b64 v[4:7], v153 offset1:96
	ds_read2st64_b64 v[20:23], v109 offset0:13 offset1:16
	ds_read2_b64 v[44:47], v154 offset1:96
	ds_read2_b64 v[36:39], v114 offset0:64 offset1:160
	ds_read2_b64 v[28:31], v113 offset0:32 offset1:128
	;; [unrolled: 1-line block ×6, first 2 shown]
	s_waitcnt lgkmcnt(0)
	s_barrier
	buffer_gl0_inv
	ds_write2_b64 v118, v[180:181], v[200:201] offset1:10
	v_mul_f64 v[180:181], v[196:197], -0.5
	v_add_f64 v[173:174], v[163:164], v[182:183]
	v_add_f64 v[163:164], v[163:164], -v[182:183]
	v_add_f64 v[100:101], v[214:215], v[100:101]
	v_fma_f64 v[182:183], v[220:221], -0.5, v[214:215]
	v_add_f64 v[94:95], v[94:95], -v[161:162]
	v_add_f64 v[69:70], v[73:74], v[69:70]
	v_mul_f64 v[73:74], v[226:227], 0.5
	v_mul_f64 v[161:162], v[218:219], -0.5
	v_add_f64 v[67:68], v[204:205], v[67:68]
	v_add_f64 v[96:97], v[96:97], -v[165:166]
	v_mul_f64 v[165:166], v[198:199], 0.5
	v_add_f64 v[50:51], v[71:72], v[50:51]
	v_mul_f64 v[71:72], v[167:168], -0.5
	v_fma_f64 v[106:107], v[178:179], s[8:9], v[106:107]
	v_fma_f64 v[167:168], v[65:66], s[8:9], v[84:85]
	v_add_f64 v[98:99], v[92:93], v[98:99]
	v_fma_f64 v[92:93], v[222:223], -0.5, v[92:93]
	v_add_f64 v[88:89], v[88:89], v[206:207]
	v_mul_f64 v[82:83], v[82:83], -0.5
	v_add_f64 v[104:105], v[104:105], v[186:187]
	v_add_f64 v[171:172], v[90:91], v[171:172]
	v_fma_f64 v[90:91], v[175:176], -0.5, v[90:91]
	v_mul_f64 v[116:117], v[116:117], 0.5
	v_add_f64 v[169:170], v[169:170], -v[202:203]
	v_fma_f64 v[65:66], v[65:66], s[6:7], v[84:85]
	v_fma_f64 v[84:85], v[184:185], s[8:9], v[180:181]
	v_add_f64 v[100:101], v[100:101], v[102:103]
	v_fma_f64 v[102:103], v[94:95], s[8:9], v[182:183]
	v_add_f64 v[48:49], v[69:70], v[48:49]
	v_fma_f64 v[69:70], v[192:193], s[8:9], v[73:74]
	v_fma_f64 v[73:74], v[94:95], s[6:7], v[182:183]
	;; [unrolled: 1-line block ×4, first 2 shown]
	v_add_f64 v[161:162], v[67:68], v[50:51]
	v_fma_f64 v[71:72], v[232:233], s[8:9], v[71:72]
	v_add_f64 v[50:51], v[67:68], -v[50:51]
	v_add_f64 v[165:166], v[167:168], v[106:107]
	v_add_f64 v[86:87], v[98:99], v[86:87]
	v_fma_f64 v[98:99], v[96:97], s[8:9], v[92:93]
	v_add_f64 v[88:89], v[88:89], v[188:189]
	v_fma_f64 v[92:93], v[96:97], s[6:7], v[92:93]
	v_fma_f64 v[82:83], v[228:229], s[8:9], v[82:83]
	v_add_f64 v[96:97], v[171:172], v[212:213]
	v_add_f64 v[104:105], v[104:105], v[210:211]
	v_fma_f64 v[78:79], v[78:79], s[8:9], v[116:117]
	v_fma_f64 v[116:117], v[169:170], s[8:9], v[90:91]
	;; [unrolled: 1-line block ×3, first 2 shown]
	v_add_f64 v[67:68], v[65:66], v[84:85]
	v_add_f64 v[106:107], v[167:168], -v[106:107]
	v_add_f64 v[65:66], v[65:66], -v[84:85]
	v_add_f64 v[84:85], v[100:101], v[48:49]
	v_add_f64 v[48:49], v[100:101], -v[48:49]
	ds_write2_b64 v118, v[173:174], v[76:77] offset0:20 offset1:30
	ds_write2_b64 v118, v[159:160], v[163:164] offset0:40 offset1:50
	ds_write2_b64 v234, v[161:162], v[165:166] offset1:10
	v_add_f64 v[100:101], v[73:74], v[94:95]
	v_mul_lo_u16 v76, 0x89, v115
	v_subrev_nc_u32_e32 v52, 60, v120
	v_add_f64 v[167:168], v[102:103], v[69:70]
	v_add_f64 v[69:70], v[102:103], -v[69:70]
	v_add_f64 v[73:74], v[73:74], -v[94:95]
	v_add_f64 v[94:95], v[86:87], v[88:89]
	v_add_f64 v[102:103], v[98:99], v[80:81]
	v_add_f64 v[86:87], v[86:87], -v[88:89]
	v_add_f64 v[88:89], v[92:93], v[82:83]
	v_lshrrev_b16 v159, 13, v76
	v_cndmask_b32_e64 v163, v52, v120, s0
	v_add_f64 v[80:81], v[98:99], -v[80:81]
	v_add_f64 v[82:83], v[92:93], -v[82:83]
	v_add_f64 v[92:93], v[96:97], v[104:105]
	v_add_f64 v[98:99], v[116:117], v[78:79]
	v_add_f64 v[96:97], v[96:97], -v[104:105]
	v_add_f64 v[104:105], v[90:91], v[71:72]
	ds_write2_b64 v234, v[67:68], v[50:51] offset0:20 offset1:30
	ds_write2_b64 v234, v[106:107], v[65:66] offset0:40 offset1:50
	v_mul_lo_u16 v50, v159, 60
	v_add_f64 v[78:79], v[116:117], -v[78:79]
	v_add_f64 v[71:72], v[90:91], -v[71:72]
	v_mul_i32_i24_e32 v51, 5, v163
	v_mov_b32_e32 v52, 0
	v_sub_nc_u16 v161, v126, v50
	ds_write2_b64 v224, v[100:101], v[48:49] offset0:20 offset1:30
	ds_write2_b64 v224, v[84:85], v[167:168] offset1:10
	ds_write2_b64 v224, v[69:70], v[73:74] offset0:40 offset1:50
	ds_write2_b64 v177, v[94:95], v[102:103] offset1:10
	ds_write2_b64 v177, v[88:89], v[86:87] offset0:20 offset1:30
	v_lshlrev_b64 v[48:49], 4, v[51:52]
	v_mul_u32_u24_sdwa v50, v161, v75 dst_sel:DWORD dst_unused:UNUSED_PAD src0_sel:BYTE_0 src1_sel:DWORD
	v_mov_b32_e32 v51, 0x8889
	ds_write2_b64 v177, v[80:81], v[82:83] offset0:40 offset1:50
	ds_write2_b64 v225, v[92:93], v[98:99] offset1:10
	ds_write2_b64 v225, v[104:105], v[96:97] offset0:20 offset1:30
	ds_write2_b64 v225, v[78:79], v[71:72] offset0:40 offset1:50
	v_add_co_u32 v48, s0, s12, v48
	v_add_co_ci_u32_e64 v49, s0, s13, v49, s0
	v_mul_u32_u24_sdwa v69, v132, v51 dst_sel:DWORD dst_unused:UNUSED_PAD src0_sel:WORD_0 src1_sel:DWORD
	v_lshlrev_b32_e32 v50, 4, v50
	s_waitcnt lgkmcnt(0)
	s_barrier
	buffer_gl0_inv
	global_load_dwordx4 v[65:68], v[48:49], off offset:848
	v_lshrrev_b32_e32 v160, 21, v69
	global_load_dwordx4 v[69:72], v50, s[12:13] offset:848
	v_mul_u32_u24_sdwa v74, v142, v51 dst_sel:DWORD dst_unused:UNUSED_PAD src0_sel:WORD_0 src1_sel:DWORD
	v_cmp_lt_u32_e64 s0, 59, v120
	v_lshlrev_b32_e32 v163, 3, v163
	v_mul_lo_u16 v73, v160, 60
	v_lshlrev_b32_sdwa v161, v158, v161 dst_sel:DWORD dst_unused:UNUSED_PAD src0_sel:DWORD src1_sel:BYTE_0
	v_lshrrev_b32_e32 v164, 21, v74
	v_sub_nc_u16 v162, v132, v73
	v_mul_lo_u16 v74, v164, 60
	v_mul_u32_u24_sdwa v73, v162, v75 dst_sel:DWORD dst_unused:UNUSED_PAD src0_sel:WORD_0 src1_sel:DWORD
	v_sub_nc_u16 v165, v142, v74
	v_lshlrev_b32_e32 v73, 4, v73
	s_clause 0x7
	global_load_dwordx4 v[77:80], v50, s[12:13] offset:832
	global_load_dwordx4 v[81:84], v73, s[12:13] offset:832
	global_load_dwordx4 v[85:88], v[48:49], off offset:832
	global_load_dwordx4 v[89:92], v[48:49], off offset:864
	global_load_dwordx4 v[93:96], v50, s[12:13] offset:864
	global_load_dwordx4 v[97:100], v73, s[12:13] offset:864
	global_load_dwordx4 v[101:104], v[48:49], off offset:800
	global_load_dwordx4 v[115:118], v73, s[12:13] offset:800
	v_mul_u32_u24_sdwa v74, v165, v75 dst_sel:DWORD dst_unused:UNUSED_PAD src0_sel:WORD_0 src1_sel:DWORD
	v_lshlrev_b32_e32 v74, 4, v74
	s_clause 0x3
	global_load_dwordx4 v[168:171], v[48:49], off offset:816
	global_load_dwordx4 v[172:175], v74, s[12:13] offset:800
	global_load_dwordx4 v[176:179], v73, s[12:13] offset:816
	;; [unrolled: 1-line block ×3, first 2 shown]
	v_mul_u32_u24_sdwa v48, v144, v51 dst_sel:DWORD dst_unused:UNUSED_PAD src0_sel:WORD_0 src1_sel:DWORD
	s_clause 0x3
	global_load_dwordx4 v[184:187], v73, s[12:13] offset:848
	global_load_dwordx4 v[188:191], v50, s[12:13] offset:800
	;; [unrolled: 1-line block ×4, first 2 shown]
	v_lshrrev_b32_e32 v166, 21, v48
	v_mul_lo_u16 v48, v166, 60
	v_sub_nc_u16 v167, v144, v48
	v_mul_u32_u24_sdwa v48, v167, v75 dst_sel:DWORD dst_unused:UNUSED_PAD src0_sel:WORD_0 src1_sel:DWORD
	v_lshlrev_b32_e32 v48, 4, v48
	s_clause 0x6
	global_load_dwordx4 v[200:203], v48, s[12:13] offset:800
	global_load_dwordx4 v[204:207], v48, s[12:13] offset:816
	;; [unrolled: 1-line block ×7, first 2 shown]
	ds_read2_b64 v[224:227], v152 offset0:128 offset1:224
	ds_read2_b64 v[228:231], v154 offset1:96
	ds_read2_b64 v[232:235], v114 offset0:64 offset1:160
	ds_read2_b64 v[236:239], v111 offset0:64 offset1:160
	ds_read2_b64 v[240:243], v153 offset1:96
	s_waitcnt vmcnt(24) lgkmcnt(4)
	v_mul_f64 v[73:74], v[224:225], v[67:68]
	v_mul_f64 v[67:68], v[40:41], v[67:68]
	s_waitcnt vmcnt(23)
	v_mul_f64 v[105:106], v[226:227], v[71:72]
	v_mul_f64 v[71:72], v[42:43], v[71:72]
	v_fma_f64 v[40:41], v[40:41], v[65:66], v[73:74]
	s_waitcnt vmcnt(22) lgkmcnt(3)
	v_mul_f64 v[73:74], v[228:229], v[79:80]
	v_mul_f64 v[79:80], v[44:45], v[79:80]
	v_fma_f64 v[75:76], v[224:225], v[65:66], -v[67:68]
	s_waitcnt vmcnt(21)
	v_mul_f64 v[65:66], v[230:231], v[83:84]
	v_mul_f64 v[83:84], v[46:47], v[83:84]
	s_waitcnt vmcnt(20)
	v_mul_f64 v[244:245], v[10:11], v[87:88]
	v_fma_f64 v[67:68], v[42:43], v[69:70], v[105:106]
	s_waitcnt vmcnt(19)
	v_mul_f64 v[42:43], v[6:7], v[91:92]
	s_waitcnt vmcnt(18) lgkmcnt(2)
	v_mul_f64 v[105:106], v[232:233], v[95:96]
	v_mul_f64 v[246:247], v[36:37], v[95:96]
	v_fma_f64 v[69:70], v[226:227], v[69:70], -v[71:72]
	ds_read2_b64 v[224:227], v113 offset0:32 offset1:128
	v_fma_f64 v[248:249], v[44:45], v[77:78], v[73:74]
	v_fma_f64 v[73:74], v[228:229], v[77:78], -v[79:80]
	s_waitcnt vmcnt(17)
	v_mul_f64 v[77:78], v[234:235], v[99:100]
	s_waitcnt lgkmcnt(2)
	v_mul_f64 v[79:80], v[238:239], v[87:88]
	v_fma_f64 v[71:72], v[230:231], v[81:82], -v[83:84]
	v_fma_f64 v[44:45], v[238:239], v[85:86], -v[244:245]
	s_waitcnt lgkmcnt(1)
	v_mul_f64 v[83:84], v[242:243], v[91:92]
	s_waitcnt vmcnt(16)
	v_mul_f64 v[228:229], v[63:64], v[103:104]
	v_fma_f64 v[42:43], v[242:243], v[89:90], -v[42:43]
	v_mul_f64 v[99:100], v[38:39], v[99:100]
	v_fma_f64 v[46:47], v[46:47], v[81:82], v[65:66]
	ds_read_b64 v[87:88], v150
	ds_read_b64 v[113:114], v151
	v_fma_f64 v[95:96], v[36:37], v[93:94], v[105:106]
	v_fma_f64 v[65:66], v[232:233], v[93:94], -v[246:247]
	ds_read2_b64 v[91:94], v112 offset0:128 offset1:224
	s_waitcnt vmcnt(15) lgkmcnt(3)
	v_mul_f64 v[230:231], v[224:225], v[117:118]
	v_mul_f64 v[117:118], v[28:29], v[117:118]
	v_fma_f64 v[36:37], v[38:39], v[97:98], v[77:78]
	v_fma_f64 v[10:11], v[10:11], v[85:86], v[79:80]
	ds_read_b64 v[81:82], v155
	ds_read_b64 v[79:80], v156
	v_fma_f64 v[6:7], v[6:7], v[89:90], v[83:84]
	s_waitcnt vmcnt(13)
	v_mul_f64 v[89:90], v[226:227], v[174:175]
	s_waitcnt lgkmcnt(4)
	v_mul_f64 v[38:39], v[87:88], v[103:104]
	s_waitcnt lgkmcnt(3)
	v_mul_f64 v[85:86], v[113:114], v[170:171]
	v_fma_f64 v[228:229], v[87:88], v[101:102], -v[228:229]
	v_add_f64 v[87:88], v[44:45], v[42:43]
	v_fma_f64 v[77:78], v[234:235], v[97:98], -v[99:100]
	v_mul_f64 v[97:98], v[30:31], v[174:175]
	s_waitcnt vmcnt(12) lgkmcnt(2)
	v_mul_f64 v[99:100], v[91:92], v[178:179]
	ds_read2_b64 v[103:106], v110 offset0:64 offset1:160
	v_fma_f64 v[174:175], v[28:29], v[115:116], v[230:231]
	v_fma_f64 v[83:84], v[224:225], v[115:116], -v[117:118]
	v_mul_f64 v[115:116], v[32:33], v[178:179]
	s_waitcnt vmcnt(11)
	v_mul_f64 v[117:118], v[93:94], v[182:183]
	ds_read2st64_b64 v[109:112], v109 offset0:13 offset1:16
	v_fma_f64 v[230:231], v[30:31], v[172:173], v[89:90]
	v_fma_f64 v[38:39], v[63:64], v[101:102], v[38:39]
	;; [unrolled: 1-line block ×3, first 2 shown]
	v_mul_f64 v[61:62], v[61:62], v[170:171]
	v_add_f64 v[63:64], v[10:11], v[6:7]
	v_add_f64 v[170:171], v[10:11], -v[6:7]
	v_fma_f64 v[224:225], v[87:88], -0.5, v[228:229]
	v_mul_f64 v[101:102], v[34:35], v[182:183]
	s_waitcnt vmcnt(10) lgkmcnt(1)
	v_mul_f64 v[182:183], v[103:104], v[186:187]
	v_fma_f64 v[85:86], v[226:227], v[172:173], -v[97:98]
	v_mul_f64 v[172:173], v[24:25], v[186:187]
	s_waitcnt vmcnt(9)
	v_mul_f64 v[186:187], v[14:15], v[190:191]
	v_fma_f64 v[89:90], v[32:33], v[176:177], v[99:100]
	s_waitcnt vmcnt(8)
	v_mul_f64 v[99:100], v[105:106], v[194:195]
	ds_read2st64_b64 v[28:31], v149 offset1:9
	v_fma_f64 v[91:92], v[91:92], v[176:177], -v[115:116]
	v_fma_f64 v[87:88], v[34:35], v[180:181], v[117:118]
	v_mul_f64 v[115:116], v[26:27], v[194:195]
	s_waitcnt vmcnt(7) lgkmcnt(1)
	v_mul_f64 v[117:118], v[111:112], v[198:199]
	v_mul_f64 v[176:177], v[22:23], v[198:199]
	ds_read2_b64 v[32:35], v108 offset0:64 offset1:160
	v_add_f64 v[10:11], v[38:39], v[10:11]
	v_add_f64 v[194:195], v[178:179], v[40:41]
	v_fma_f64 v[61:62], v[113:114], v[168:169], -v[61:62]
	v_fma_f64 v[113:114], v[63:64], -0.5, v[38:39]
	v_add_f64 v[168:169], v[44:45], -v[42:43]
	v_fma_f64 v[198:199], v[170:171], s[8:9], v[224:225]
	v_fma_f64 v[93:94], v[93:94], v[180:181], -v[101:102]
	s_waitcnt vmcnt(5)
	v_mul_f64 v[180:181], v[236:237], v[206:207]
	v_fma_f64 v[97:98], v[24:25], v[184:185], v[182:183]
	v_fma_f64 v[63:64], v[103:104], v[184:185], -v[172:173]
	v_mul_f64 v[172:173], v[109:110], v[202:203]
	s_waitcnt lgkmcnt(1)
	v_mul_f64 v[107:108], v[30:31], v[190:191]
	v_fma_f64 v[101:102], v[30:31], v[188:189], -v[186:187]
	v_add_f64 v[30:31], v[73:74], v[65:66]
	v_fma_f64 v[103:104], v[26:27], v[192:193], v[99:100]
	v_mul_f64 v[26:27], v[20:21], v[202:203]
	v_fma_f64 v[99:100], v[105:106], v[192:193], -v[115:116]
	v_fma_f64 v[105:106], v[22:23], v[196:197], v[117:118]
	v_fma_f64 v[176:177], v[111:112], v[196:197], -v[176:177]
	v_mul_f64 v[111:112], v[8:9], v[206:207]
	v_add_f64 v[115:116], v[12:13], v[178:179]
	s_waitcnt vmcnt(4) lgkmcnt(0)
	v_mul_f64 v[186:187], v[32:33], v[210:211]
	v_mul_f64 v[190:191], v[16:17], v[210:211]
	v_fma_f64 v[182:183], v[194:195], -0.5, v[12:13]
	v_add_f64 v[184:185], v[61:62], -v[75:76]
	s_waitcnt vmcnt(3)
	v_mul_f64 v[192:193], v[34:35], v[214:215]
	v_fma_f64 v[38:39], v[168:169], s[6:7], v[113:114]
	v_mul_f64 v[117:118], v[198:199], s[6:7]
	ds_read2_b64 v[22:25], v157 offset0:128 offset1:224
	v_fma_f64 v[170:171], v[170:171], s[6:7], v[224:225]
	v_add_f64 v[6:7], v[10:11], v[6:7]
	v_fma_f64 v[168:169], v[168:169], s[8:9], v[113:114]
	v_fma_f64 v[20:21], v[20:21], v[200:201], v[172:173]
	;; [unrolled: 1-line block ×3, first 2 shown]
	v_add_f64 v[107:108], v[248:249], v[95:96]
	v_add_f64 v[172:173], v[248:249], -v[95:96]
	v_fma_f64 v[30:31], v[30:31], -0.5, v[101:102]
	v_fma_f64 v[12:13], v[109:110], v[200:201], -v[26:27]
	s_waitcnt vmcnt(2)
	v_mul_f64 v[26:27], v[0:1], v[218:219]
	v_fma_f64 v[14:15], v[8:9], v[204:205], v[180:181]
	v_mul_f64 v[8:9], v[18:19], v[214:215]
	s_waitcnt vmcnt(0)
	v_mul_f64 v[200:201], v[2:3], v[50:51]
	v_mul_f64 v[180:181], v[240:241], v[222:223]
	v_fma_f64 v[111:112], v[236:237], v[204:205], -v[111:112]
	v_add_f64 v[10:11], v[115:116], v[40:41]
	v_fma_f64 v[16:17], v[16:17], v[208:209], v[186:187]
	v_fma_f64 v[204:205], v[184:185], s[6:7], v[182:183]
	v_fma_f64 v[113:114], v[32:33], v[208:209], -v[190:191]
	s_waitcnt lgkmcnt(0)
	v_mul_f64 v[196:197], v[22:23], v[218:219]
	v_fma_f64 v[202:203], v[38:39], 0.5, v[117:118]
	v_add_f64 v[190:191], v[73:74], -v[65:66]
	v_fma_f64 v[18:19], v[18:19], v[212:213], v[192:193]
	v_mul_f64 v[192:193], v[24:25], v[50:51]
	v_mul_f64 v[206:207], v[170:171], s[6:7]
	;; [unrolled: 1-line block ×3, first 2 shown]
	v_add_f64 v[186:187], v[105:106], v[67:68]
	v_fma_f64 v[32:33], v[107:108], -0.5, v[188:189]
	v_add_f64 v[210:211], v[61:62], v[75:76]
	v_fma_f64 v[208:209], v[172:173], s[8:9], v[30:31]
	v_fma_f64 v[172:173], v[172:173], s[6:7], v[30:31]
	v_fma_f64 v[109:110], v[22:23], v[216:217], -v[26:27]
	v_fma_f64 v[22:23], v[184:185], s[8:9], v[182:183]
	v_fma_f64 v[115:116], v[34:35], v[212:213], -v[8:9]
	v_fma_f64 v[107:108], v[24:25], v[48:49], -v[200:201]
	v_fma_f64 v[117:118], v[4:5], v[220:221], v[180:181]
	v_add_f64 v[26:27], v[188:189], v[248:249]
	v_add_f64 v[4:5], v[10:11], v[6:7]
	;; [unrolled: 1-line block ×5, first 2 shown]
	v_fma_f64 v[0:1], v[0:1], v[216:217], v[196:197]
	v_add_f64 v[8:9], v[204:205], v[202:203]
	v_add_f64 v[196:197], v[204:205], -v[202:203]
	v_add_f64 v[204:205], v[89:90], v[97:98]
	v_fma_f64 v[2:3], v[2:3], v[48:49], v[192:193]
	v_fma_f64 v[24:25], v[168:169], -0.5, v[206:207]
	v_fma_f64 v[50:51], v[240:241], v[220:221], -v[194:195]
	v_cndmask_b32_e64 v194, 0, 0xb40, s0
	v_fma_f64 v[182:183], v[190:191], s[6:7], v[32:33]
	v_fma_f64 v[59:60], v[186:187], -0.5, v[59:60]
	v_mul_f64 v[184:185], v[208:209], s[6:7]
	v_add_f64 v[186:187], v[176:177], -v[69:70]
	v_add_f64 v[48:49], v[113:114], v[109:110]
	v_add3_u32 v238, 0, v194, v163
	v_fma_f64 v[188:189], v[210:211], -0.5, v[28:29]
	v_add_f64 v[30:31], v[115:116], v[107:108]
	v_add_f64 v[28:29], v[28:29], v[61:62]
	ds_read_b64 v[192:193], v137
	ds_read_b64 v[194:195], v131
	s_waitcnt lgkmcnt(0)
	s_barrier
	buffer_gl0_inv
	v_fma_f64 v[61:62], v[180:181], -0.5, v[83:84]
	v_add_f64 v[26:27], v[26:27], v[95:96]
	ds_write2_b64 v238, v[4:5], v[8:9] offset1:60
	v_add_f64 v[4:5], v[10:11], -v[6:7]
	v_add_f64 v[8:9], v[46:47], v[36:37]
	v_add_f64 v[10:11], v[46:47], -v[36:37]
	v_add_f64 v[200:201], v[16:17], -v[0:1]
	v_add_f64 v[34:35], v[34:35], v[67:68]
	v_fma_f64 v[190:191], v[190:191], s[8:9], v[32:33]
	v_add_f64 v[32:33], v[18:19], v[2:3]
	v_add_f64 v[202:203], v[18:19], -v[2:3]
	v_fma_f64 v[95:96], v[182:183], 0.5, v[184:185]
	v_add_f64 v[184:185], v[16:17], v[0:1]
	v_fma_f64 v[48:49], v[48:49], -0.5, v[85:86]
	v_add_f64 v[6:7], v[22:23], v[24:25]
	v_add_f64 v[22:23], v[22:23], -v[24:25]
	v_fma_f64 v[30:31], v[30:31], -0.5, v[12:13]
	v_mul_f64 v[24:25], v[172:173], s[6:7]
	v_fma_f64 v[180:181], v[186:187], s[6:7], v[59:60]
	v_add_f64 v[206:207], v[71:72], -v[77:78]
	v_add_f64 v[216:217], v[113:114], -v[109:110]
	v_fma_f64 v[59:60], v[186:187], s[8:9], v[59:60]
	v_add_f64 v[46:47], v[174:175], v[46:47]
	v_add_f64 v[220:221], v[91:92], -v[63:64]
	v_add_f64 v[16:17], v[230:231], v[16:17]
	v_add_f64 v[226:227], v[93:94], -v[99:100]
	v_fma_f64 v[8:9], v[8:9], -0.5, v[174:175]
	v_fma_f64 v[210:211], v[10:11], s[8:9], v[61:62]
	v_fma_f64 v[214:215], v[10:11], s[6:7], v[61:62]
	v_add_f64 v[212:213], v[34:35], v[26:27]
	v_add_f64 v[26:27], v[34:35], -v[26:27]
	v_fma_f64 v[32:33], v[32:33], -0.5, v[20:21]
	v_add_f64 v[34:35], v[14:15], v[117:118]
	v_add_f64 v[174:175], v[57:58], v[89:90]
	v_fma_f64 v[61:62], v[184:185], -0.5, v[230:231]
	v_add_f64 v[184:185], v[87:88], v[103:104]
	v_fma_f64 v[186:187], v[200:201], s[6:7], v[48:49]
	v_fma_f64 v[218:219], v[200:201], s[8:9], v[48:49]
	v_add_f64 v[48:49], v[115:116], -v[107:108]
	v_fma_f64 v[200:201], v[202:203], s[8:9], v[30:31]
	v_fma_f64 v[24:25], v[190:191], -0.5, v[24:25]
	v_fma_f64 v[202:203], v[202:203], s[6:7], v[30:31]
	v_fma_f64 v[57:58], v[204:205], -0.5, v[57:58]
	v_add_f64 v[10:11], v[180:181], v[95:96]
	v_add_f64 v[18:19], v[20:21], v[18:19]
	;; [unrolled: 1-line block ×3, first 2 shown]
	v_add_f64 v[232:233], v[111:112], -v[50:51]
	v_mov_b32_e32 v163, 0xb40
	v_fma_f64 v[204:205], v[206:207], s[6:7], v[8:9]
	v_mul_f64 v[30:31], v[210:211], s[6:7]
	v_fma_f64 v[206:207], v[206:207], s[8:9], v[8:9]
	v_mul_f64 v[8:9], v[214:215], s[6:7]
	v_mul_u32_u24_sdwa v159, v159, v163 dst_sel:DWORD dst_unused:UNUSED_PAD src0_sel:WORD_0 src1_sel:DWORD
	v_add_nc_u32_e32 v239, 0x400, v238
	v_fma_f64 v[34:35], v[34:35], -0.5, v[53:54]
	v_add_f64 v[0:1], v[16:17], v[0:1]
	v_add_f64 v[16:17], v[222:223], v[103:104]
	v_fma_f64 v[55:56], v[184:185], -0.5, v[55:56]
	v_fma_f64 v[184:185], v[216:217], s[6:7], v[61:62]
	v_fma_f64 v[216:217], v[216:217], s[8:9], v[61:62]
	v_mul_f64 v[61:62], v[186:187], s[6:7]
	v_mul_f64 v[224:225], v[218:219], s[6:7]
	v_fma_f64 v[230:231], v[48:49], s[6:7], v[32:33]
	v_mul_f64 v[53:54], v[200:201], s[6:7]
	v_add_f64 v[234:235], v[59:60], v[24:25]
	v_fma_f64 v[236:237], v[48:49], s[8:9], v[32:33]
	v_mul_f64 v[32:33], v[202:203], s[6:7]
	v_add3_u32 v240, 0, v159, v161
	ds_write2_b64 v238, v[6:7], v[4:5] offset0:120 offset1:180
	ds_write2_b64 v239, v[196:197], v[22:23] offset0:112 offset1:172
	ds_write2_b64 v240, v[212:213], v[10:11] offset1:60
	v_add_f64 v[4:5], v[46:47], v[36:37]
	v_add_f64 v[6:7], v[174:175], v[97:98]
	v_fma_f64 v[10:11], v[204:205], 0.5, v[30:31]
	v_fma_f64 v[22:23], v[220:221], s[6:7], v[57:58]
	v_fma_f64 v[30:31], v[220:221], s[8:9], v[57:58]
	v_fma_f64 v[8:9], v[206:207], -0.5, v[8:9]
	v_add_f64 v[2:3], v[18:19], v[2:3]
	v_add_f64 v[18:19], v[20:21], v[117:118]
	v_fma_f64 v[46:47], v[226:227], s[6:7], v[55:56]
	v_fma_f64 v[48:49], v[226:227], s[8:9], v[55:56]
	v_add_f64 v[24:25], v[59:60], -v[24:25]
	v_fma_f64 v[55:56], v[216:217], -0.5, v[61:62]
	v_fma_f64 v[36:37], v[184:185], 0.5, v[224:225]
	v_mul_u32_u24_e32 v61, 0xb40, v160
	v_fma_f64 v[20:21], v[230:231], 0.5, v[53:54]
	v_fma_f64 v[53:54], v[232:233], s[6:7], v[34:35]
	ds_write2_b64 v240, v[234:235], v[26:27] offset0:120 offset1:180
	v_fma_f64 v[26:27], v[232:233], s[8:9], v[34:35]
	v_fma_f64 v[32:33], v[236:237], -0.5, v[32:33]
	v_add_f64 v[34:35], v[180:181], -v[95:96]
	v_lshlrev_b32_sdwa v62, v158, v162 dst_sel:DWORD dst_unused:UNUSED_PAD src0_sel:DWORD src1_sel:WORD_0
	v_add_nc_u32_e32 v224, 0x400, v240
	v_add_f64 v[196:197], v[91:92], v[63:64]
	v_add_f64 v[57:58], v[6:7], v[4:5]
	v_add_f64 v[4:5], v[6:7], -v[4:5]
	v_add_f64 v[59:60], v[22:23], v[10:11]
	v_add_f64 v[10:11], v[22:23], -v[10:11]
	;; [unrolled: 2-line block ×4, first 2 shown]
	v_add3_u32 v225, 0, v61, v62
	v_mul_u32_u24_e32 v61, 0xb40, v166
	v_add_f64 v[16:17], v[48:49], v[55:56]
	v_add_f64 v[30:31], v[46:47], v[36:37]
	v_add_f64 v[36:37], v[46:47], -v[36:37]
	v_add_f64 v[46:47], v[48:49], -v[55:56]
	v_add_f64 v[48:49], v[18:19], v[2:3]
	v_add_f64 v[55:56], v[53:54], v[20:21]
	v_add_f64 v[2:3], v[18:19], -v[2:3]
	v_add_f64 v[18:19], v[53:54], -v[20:21]
	v_add_f64 v[20:21], v[26:27], v[32:33]
	v_add_f64 v[26:27], v[26:27], -v[32:33]
	v_mul_u32_u24_e32 v53, 0xb40, v164
	v_lshlrev_b32_sdwa v54, v158, v165 dst_sel:DWORD dst_unused:UNUSED_PAD src0_sel:DWORD src1_sel:WORD_0
	v_lshlrev_b32_sdwa v62, v158, v167 dst_sel:DWORD dst_unused:UNUSED_PAD src0_sel:DWORD src1_sel:WORD_0
	v_add_f64 v[32:33], v[228:229], v[44:45]
	v_add_nc_u32_e32 v227, 0x400, v225
	ds_write2_b64 v224, v[34:35], v[24:25] offset0:112 offset1:172
	v_add3_u32 v226, 0, v53, v54
	v_add3_u32 v228, 0, v61, v62
	ds_write2_b64 v225, v[57:58], v[59:60] offset1:60
	ds_write2_b64 v225, v[6:7], v[4:5] offset0:120 offset1:180
	ds_write2_b64 v227, v[10:11], v[8:9] offset0:112 offset1:172
	ds_write2_b64 v226, v[22:23], v[30:31] offset1:60
	v_add_nc_u32_e32 v229, 0x400, v226
	v_add_nc_u32_e32 v232, 0x400, v228
	ds_write2_b64 v226, v[16:17], v[0:1] offset0:120 offset1:180
	ds_write2_b64 v229, v[36:37], v[46:47] offset0:112 offset1:172
	ds_write2_b64 v228, v[48:49], v[55:56] offset1:60
	ds_write2_b64 v228, v[20:21], v[2:3] offset0:120 offset1:180
	ds_write2_b64 v232, v[18:19], v[26:27] offset0:112 offset1:172
	v_add_f64 v[0:1], v[178:179], -v[40:41]
	v_mul_f64 v[44:45], v[198:199], 0.5
	v_mul_f64 v[2:3], v[170:171], -0.5
	v_add_f64 v[198:199], v[93:94], v[99:100]
	v_add_f64 v[222:223], v[111:112], v[50:51]
	;; [unrolled: 1-line block ×3, first 2 shown]
	v_add_f64 v[67:68], v[105:106], -v[67:68]
	v_mul_f64 v[105:106], v[172:173], -0.5
	v_add_f64 v[71:72], v[83:84], v[71:72]
	v_add_f64 v[83:84], v[194:195], v[91:92]
	v_fma_f64 v[91:92], v[196:197], -0.5, v[194:195]
	v_mul_f64 v[172:173], v[210:211], 0.5
	v_add_f64 v[89:90], v[89:90], -v[97:98]
	v_mul_f64 v[97:98], v[214:215], -0.5
	v_add_f64 v[93:94], v[81:82], v[93:94]
	v_add_f64 v[87:88], v[87:88], -v[103:104]
	v_add_f64 v[85:86], v[85:86], v[113:114]
	v_mul_f64 v[103:104], v[218:219], 0.5
	v_mul_f64 v[113:114], v[186:187], -0.5
	v_add_f64 v[111:112], v[79:80], v[111:112]
	v_add_f64 v[14:15], v[14:15], -v[117:118]
	v_add_f64 v[12:13], v[12:13], v[115:116]
	v_fma_f64 v[170:171], v[0:1], s[8:9], v[188:189]
	v_fma_f64 v[180:181], v[0:1], s[6:7], v[188:189]
	v_add_f64 v[188:189], v[176:177], v[69:70]
	v_fma_f64 v[178:179], v[38:39], s[8:9], v[44:45]
	v_add_f64 v[176:177], v[192:193], v[176:177]
	v_fma_f64 v[81:82], v[198:199], -0.5, v[81:82]
	v_fma_f64 v[79:80], v[222:223], -0.5, v[79:80]
	v_mul_f64 v[115:116], v[200:201], 0.5
	v_add_f64 v[75:76], v[28:29], v[75:76]
	v_add_f64 v[174:175], v[32:33], v[42:43]
	v_fma_f64 v[168:169], v[168:169], s[8:9], v[2:3]
	v_add_f64 v[65:66], v[73:74], v[65:66]
	v_fma_f64 v[105:106], v[190:191], s[8:9], v[105:106]
	v_add_f64 v[63:64], v[83:84], v[63:64]
	v_add_f64 v[71:72], v[71:72], v[77:78]
	v_fma_f64 v[77:78], v[204:205], s[8:9], v[172:173]
	v_fma_f64 v[83:84], v[89:90], s[8:9], v[91:92]
	;; [unrolled: 1-line block ×4, first 2 shown]
	v_add_f64 v[93:94], v[93:94], v[99:100]
	v_add_f64 v[85:86], v[85:86], v[109:110]
	v_fma_f64 v[99:100], v[216:217], s[8:9], v[113:114]
	v_add_f64 v[50:51], v[111:112], v[50:51]
	v_add_f64 v[107:108], v[12:13], v[107:108]
	v_fma_f64 v[101:102], v[188:189], -0.5, v[192:193]
	v_add_f64 v[220:221], v[170:171], v[178:179]
	v_add_f64 v[170:171], v[170:171], -v[178:179]
	v_mul_f64 v[178:179], v[208:209], 0.5
	v_add_f64 v[69:70], v[176:177], v[69:70]
	v_fma_f64 v[97:98], v[87:88], s[8:9], v[81:82]
	v_fma_f64 v[81:82], v[87:88], s[6:7], v[81:82]
	;; [unrolled: 1-line block ×6, first 2 shown]
	v_add_f64 v[212:213], v[75:76], v[174:175]
	v_add_f64 v[75:76], v[75:76], -v[174:175]
	v_add_f64 v[174:175], v[180:181], v[168:169]
	v_add_f64 v[168:169], v[180:181], -v[168:169]
	v_lshl_add_u32 v161, v134, 3, 0
	v_lshl_add_u32 v162, v129, 3, 0
	v_add_nc_u32_e32 v160, 0x3c00, v149
	v_lshl_add_u32 v163, v138, 3, 0
	v_lshl_add_u32 v167, v139, 3, 0
	v_add_nc_u32_e32 v95, 0x2c00, v149
	v_lshl_add_u32 v96, v140, 3, 0
	v_fma_f64 v[117:118], v[67:68], s[8:9], v[101:102]
	v_fma_f64 v[67:68], v[67:68], s[6:7], v[101:102]
	v_mul_f64 v[101:102], v[202:203], -0.5
	v_fma_f64 v[73:74], v[182:183], s[8:9], v[178:179]
	v_add_f64 v[111:112], v[69:70], v[65:66]
	v_add_f64 v[65:66], v[69:70], -v[65:66]
	v_add_nc_u32_e32 v164, 0x4400, v149
	v_lshl_add_u32 v165, v130, 3, 0
	v_lshl_add_u32 v159, v128, 3, 0
	;; [unrolled: 1-line block ×3, first 2 shown]
	v_add_f64 v[115:116], v[103:104], v[109:110]
	s_waitcnt lgkmcnt(0)
	s_barrier
	buffer_gl0_inv
	ds_read_b64 v[57:58], v149
	ds_read_b64 v[48:49], v155
	;; [unrolled: 1-line block ×15, first 2 shown]
	ds_read_b64 v[61:62], v149 offset:22272
	ds_read2_b64 v[16:19], v95 offset0:32 offset1:128
	ds_read2_b64 v[24:27], v154 offset0:96 offset1:192
	;; [unrolled: 1-line block ×7, first 2 shown]
	s_waitcnt lgkmcnt(0)
	s_barrier
	v_add_f64 v[113:114], v[67:68], v[105:106]
	v_fma_f64 v[101:102], v[236:237], s[8:9], v[101:102]
	v_add_f64 v[69:70], v[117:118], v[73:74]
	v_add_f64 v[73:74], v[117:118], -v[73:74]
	v_add_f64 v[67:68], v[67:68], -v[105:106]
	v_add_f64 v[105:106], v[63:64], v[71:72]
	v_add_f64 v[63:64], v[63:64], -v[71:72]
	v_add_f64 v[71:72], v[83:84], v[77:78]
	;; [unrolled: 2-line block ×7, first 2 shown]
	v_add_f64 v[50:51], v[50:51], -v[107:108]
	buffer_gl0_inv
	ds_write2_b64 v238, v[212:213], v[220:221] offset1:60
	ds_write2_b64 v238, v[174:175], v[75:76] offset0:120 offset1:180
	ds_write2_b64 v239, v[170:171], v[168:169] offset0:112 offset1:172
	ds_write2_b64 v240, v[111:112], v[69:70] offset1:60
	ds_write2_b64 v240, v[113:114], v[65:66] offset0:120 offset1:180
	ds_write2_b64 v224, v[73:74], v[67:68] offset0:112 offset1:172
	ds_write2_b64 v225, v[105:106], v[71:72] offset1:60
	ds_write2_b64 v225, v[83:84], v[63:64] offset0:120 offset1:180
	ds_write2_b64 v227, v[77:78], v[89:90] offset0:112 offset1:172
	v_add_f64 v[107:108], v[79:80], v[101:102]
	v_lshlrev_b64 v[63:64], 4, v[120:121]
	ds_write2_b64 v226, v[91:92], v[93:94] offset1:60
	ds_write2_b64 v226, v[97:98], v[85:86] offset0:120 offset1:180
	ds_write2_b64 v229, v[87:88], v[81:82] offset0:112 offset1:172
	ds_write2_b64 v228, v[99:100], v[115:116] offset1:60
	v_add_co_u32 v85, s0, s12, v63
	v_add_co_ci_u32_e64 v86, s0, s13, v64, s0
	v_add_nc_u32_e32 v63, 0xffffffb8, v120
	v_add_co_u32 v64, s0, 0x1000, v85
	v_add_co_ci_u32_e64 v65, s0, 0, v86, s0
	v_add_f64 v[75:76], v[103:104], -v[109:110]
	v_add_f64 v[79:80], v[79:80], -v[101:102]
	v_lshlrev_b64 v[66:67], 4, v[132:133]
	ds_write2_b64 v228, v[107:108], v[50:51] offset0:120 offset1:180
	v_lshlrev_b64 v[50:51], 4, v[126:127]
	v_mov_b32_e32 v84, 0x2d83
	v_add_nc_u32_e32 v74, 0xd8, v120
	v_add_co_u32 v87, s0, s12, v50
	v_add_co_ci_u32_e64 v88, s0, s13, v51, s0
	v_cmp_gt_u32_e64 s0, 0x48, v120
	v_mul_u32_u24_sdwa v110, v135, v84 dst_sel:DWORD dst_unused:UNUSED_PAD src0_sel:WORD_0 src1_sel:DWORD
	v_mul_u32_u24_sdwa v118, v130, v84 dst_sel:DWORD dst_unused:UNUSED_PAD src0_sel:WORD_0 src1_sel:DWORD
	v_cndmask_b32_e64 v51, v63, v142, s0
	v_add_co_u32 v68, s0, 0x1000, v87
	v_add_co_ci_u32_e64 v69, s0, 0, v88, s0
	v_lshlrev_b64 v[70:71], 4, v[51:52]
	v_add_co_u32 v89, s0, s12, v66
	v_add_co_ci_u32_e64 v90, s0, s13, v67, s0
	ds_write2_b64 v232, v[75:76], v[79:80] offset0:112 offset1:172
	v_add_co_u32 v50, s0, s12, v70
	v_add_co_ci_u32_e64 v63, s0, s13, v71, s0
	v_add_co_u32 v70, s0, 0x1000, v89
	v_add_co_ci_u32_e64 v71, s0, 0, v90, s0
	v_add_co_u32 v82, s0, 0x1000, v50
	v_mul_u32_u24_sdwa v50, v128, v84 dst_sel:DWORD dst_unused:UNUSED_PAD src0_sel:WORD_0 src1_sel:DWORD
	v_mov_b32_e32 v75, v52
	v_add_co_ci_u32_e64 v83, s0, 0, v63, s0
	s_waitcnt lgkmcnt(0)
	v_lshrrev_b32_e32 v63, 22, v50
	s_barrier
	buffer_gl0_inv
	s_clause 0x1
	global_load_dwordx4 v[66:69], v[68:69], off offset:1504
	global_load_dwordx4 v[70:73], v[70:71], off offset:1504
	v_add_co_u32 v97, s0, 0x1800, v85
	v_lshlrev_b64 v[101:102], 4, v[74:75]
	s_clause 0x1
	global_load_dwordx4 v[74:77], v[64:65], off offset:1504
	global_load_dwordx4 v[78:81], v[64:65], off offset:1888
	v_mul_u32_u24_sdwa v65, v134, v84 dst_sel:DWORD dst_unused:UNUSED_PAD src0_sel:WORD_0 src1_sel:DWORD
	v_mul_lo_u16 v50, 0x168, v63
	v_add_co_ci_u32_e64 v98, s0, 0, v86, s0
	s_clause 0x1
	global_load_dwordx4 v[91:94], v[82:83], off offset:1504
	global_load_dwordx4 v[97:100], v[97:98], off offset:1376
	v_lshrrev_b32_e32 v65, 22, v65
	v_sub_nc_u16 v64, v128, v50
	v_mov_b32_e32 v50, 4
	v_add_co_u32 v82, s0, s12, v101
	v_add_co_ci_u32_e64 v83, s0, s13, v102, s0
	v_mul_u32_u24_sdwa v102, v129, v84 dst_sel:DWORD dst_unused:UNUSED_PAD src0_sel:WORD_0 src1_sel:DWORD
	v_mul_lo_u16 v65, 0x168, v65
	v_lshlrev_b32_sdwa v101, v50, v64 dst_sel:DWORD dst_unused:UNUSED_PAD src0_sel:DWORD src1_sel:WORD_0
	v_add_co_u32 v82, s0, 0x1000, v82
	v_lshrrev_b32_e32 v102, 22, v102
	v_add_co_ci_u32_e64 v83, s0, 0, v83, s0
	v_sub_nc_u16 v65, v134, v65
	v_add_co_u32 v101, s0, s12, v101
	v_add_co_ci_u32_e64 v103, null, s13, 0, s0
	v_mul_lo_u16 v102, 0x168, v102
	v_and_b32_e32 v65, 0xffff, v65
	v_add_co_u32 v105, s0, 0x1000, v101
	v_add_co_ci_u32_e64 v106, s0, 0, v103, s0
	v_sub_nc_u16 v109, v129, v102
	v_lshlrev_b32_e32 v111, 4, v65
	s_clause 0x1
	global_load_dwordx4 v[101:104], v[82:83], off offset:1504
	global_load_dwordx4 v[105:108], v[105:106], off offset:1504
	v_lshrrev_b32_e32 v82, 22, v110
	v_lshlrev_b32_e32 v51, 3, v51
	v_and_b32_e32 v121, 0xffff, v109
	v_add_co_u32 v83, s0, s12, v111
	v_add_co_ci_u32_e64 v109, null, s13, 0, s0
	v_mul_lo_u16 v111, 0x168, v82
	v_lshlrev_b32_e32 v110, 4, v121
	v_add_co_u32 v82, s0, 0x1000, v83
	v_add_co_ci_u32_e64 v83, s0, 0, v109, s0
	v_sub_nc_u16 v109, v135, v111
	v_mul_u32_u24_sdwa v111, v138, v84 dst_sel:DWORD dst_unused:UNUSED_PAD src0_sel:WORD_0 src1_sel:DWORD
	v_add_co_u32 v110, s0, s12, v110
	v_add_co_ci_u32_e64 v112, null, s13, 0, s0
	v_and_b32_e32 v127, 0xffff, v109
	v_lshrrev_b32_e32 v133, 22, v111
	v_add_co_u32 v113, s0, 0x1000, v110
	v_add_co_ci_u32_e64 v114, s0, 0, v112, s0
	v_mul_lo_u16 v117, 0x168, v133
	v_lshlrev_b32_e32 v168, 4, v127
	s_clause 0x1
	global_load_dwordx4 v[109:112], v[82:83], off offset:1504
	global_load_dwordx4 v[113:116], v[113:114], off offset:1504
	v_lshrrev_b32_e32 v82, 22, v118
	v_lshl_add_u32 v121, v121, 3, 0
	v_sub_nc_u16 v218, v138, v117
	v_add_co_u32 v83, s0, s12, v168
	v_add_co_ci_u32_e64 v117, null, s13, 0, s0
	v_mul_lo_u16 v118, 0x168, v82
	v_mul_u32_u24_sdwa v168, v136, v84 dst_sel:DWORD dst_unused:UNUSED_PAD src0_sel:WORD_0 src1_sel:DWORD
	v_lshlrev_b32_sdwa v50, v50, v218 dst_sel:DWORD dst_unused:UNUSED_PAD src0_sel:DWORD src1_sel:WORD_0
	v_add_co_u32 v82, s0, 0x1000, v83
	v_add_co_ci_u32_e64 v83, s0, 0, v117, s0
	v_sub_nc_u16 v117, v130, v118
	v_lshrrev_b32_e32 v118, 22, v168
	v_add_co_u32 v50, s0, s12, v50
	v_mul_u32_u24_sdwa v84, v139, v84 dst_sel:DWORD dst_unused:UNUSED_PAD src0_sel:WORD_0 src1_sel:DWORD
	v_and_b32_e32 v219, 0xffff, v117
	v_mul_lo_u16 v169, 0x168, v118
	v_add_co_ci_u32_e64 v168, null, s13, 0, s0
	v_add_co_u32 v117, s0, 0x1000, v50
	v_lshrrev_b32_e32 v50, 22, v84
	v_sub_nc_u16 v84, v136, v169
	v_lshlrev_b32_e32 v176, 4, v219
	v_add_co_ci_u32_e64 v118, s0, 0, v168, s0
	v_mul_lo_u16 v50, 0x168, v50
	v_and_b32_e32 v84, 0xffff, v84
	s_clause 0x1
	global_load_dwordx4 v[168:171], v[82:83], off offset:1504
	global_load_dwordx4 v[172:175], v[117:118], off offset:1504
	v_add_co_u32 v82, s0, s12, v176
	v_sub_nc_u16 v50, v139, v50
	v_add_co_ci_u32_e64 v83, null, s13, 0, s0
	v_lshlrev_b32_e32 v117, 4, v84
	v_add_co_u32 v82, s0, 0x1000, v82
	v_and_b32_e32 v220, 0xffff, v50
	v_add_co_ci_u32_e64 v83, s0, 0, v83, s0
	v_add_co_u32 v50, s0, s12, v117
	v_add_co_ci_u32_e64 v118, null, s13, 0, s0
	v_lshlrev_b32_e32 v176, 4, v220
	v_add_co_u32 v117, s0, 0x1000, v50
	v_add_co_ci_u32_e64 v118, s0, 0, v118, s0
	v_add_co_u32 v50, s0, s12, v176
	v_add_co_ci_u32_e64 v184, null, s13, 0, s0
	s_clause 0x1
	global_load_dwordx4 v[176:179], v[82:83], off offset:1504
	global_load_dwordx4 v[180:183], v[117:118], off offset:1504
	v_add_co_u32 v82, s0, 0x1000, v50
	v_add_co_ci_u32_e64 v83, s0, 0, v184, s0
	v_cmp_lt_u32_e64 s0, 0x47, v120
	v_lshl_add_u32 v127, v127, 3, 0
	v_lshl_add_u32 v84, v84, 3, 0
	global_load_dwordx4 v[184:187], v[82:83], off offset:1504
	ds_read2_b64 v[188:191], v95 offset0:32 offset1:128
	ds_read2_b64 v[192:195], v154 offset0:96 offset1:192
	;; [unrolled: 1-line block ×3, first 2 shown]
	v_cndmask_b32_e64 v50, 0, 0x1680, s0
	v_add3_u32 v51, 0, v50, v51
	v_lshl_add_u32 v50, v120, 3, 0
	s_waitcnt vmcnt(14) lgkmcnt(2)
	v_mul_f64 v[204:205], v[190:191], v[68:69]
	s_waitcnt vmcnt(13) lgkmcnt(1)
	v_mul_f64 v[206:207], v[192:193], v[72:73]
	v_mul_f64 v[72:73], v[24:25], v[72:73]
	;; [unrolled: 1-line block ×3, first 2 shown]
	s_waitcnt vmcnt(12)
	v_mul_f64 v[117:118], v[188:189], v[76:77]
	v_mul_f64 v[76:77], v[16:17], v[76:77]
	s_waitcnt vmcnt(11) lgkmcnt(0)
	v_mul_f64 v[210:211], v[196:197], v[80:81]
	v_mul_f64 v[212:213], v[20:21], v[80:81]
	ds_read2_b64 v[80:83], v160 offset0:96 offset1:192
	ds_read2_b64 v[200:203], v164 offset0:32 offset1:128
	s_waitcnt vmcnt(10)
	v_mul_f64 v[208:209], v[194:195], v[93:94]
	v_mul_f64 v[93:94], v[26:27], v[93:94]
	s_waitcnt vmcnt(9)
	v_mul_f64 v[214:215], v[198:199], v[99:100]
	v_fma_f64 v[24:25], v[24:25], v[70:71], v[206:207]
	v_fma_f64 v[70:71], v[192:193], v[70:71], -v[72:73]
	v_fma_f64 v[117:118], v[16:17], v[74:75], v[117:118]
	v_fma_f64 v[74:75], v[188:189], v[74:75], -v[76:77]
	v_fma_f64 v[76:77], v[18:19], v[66:67], v[204:205]
	ds_read2_b64 v[16:19], v153 offset0:96 offset1:192
	v_fma_f64 v[188:189], v[190:191], v[66:67], -v[68:69]
	ds_read2_b64 v[66:69], v157 offset0:32 offset1:128
	v_fma_f64 v[20:21], v[20:21], v[78:79], v[210:211]
	v_fma_f64 v[26:27], v[26:27], v[91:92], v[208:209]
	v_fma_f64 v[72:73], v[194:195], v[91:92], -v[93:94]
	v_mul_f64 v[91:92], v[22:23], v[99:100]
	ds_read_b64 v[99:100], v149 offset:22272
	v_fma_f64 v[78:79], v[196:197], v[78:79], -v[212:213]
	v_fma_f64 v[22:23], v[22:23], v[97:98], v[214:215]
	ds_read_b64 v[210:211], v151
	ds_read_b64 v[212:213], v150
	;; [unrolled: 1-line block ×3, first 2 shown]
	s_waitcnt vmcnt(8) lgkmcnt(7)
	v_mul_f64 v[93:94], v[80:81], v[103:104]
	v_mul_f64 v[103:104], v[4:5], v[103:104]
	s_waitcnt vmcnt(7)
	v_mul_f64 v[190:191], v[82:83], v[107:108]
	v_mul_f64 v[107:108], v[6:7], v[107:108]
	v_add_f64 v[24:25], v[55:56], -v[24:25]
	v_add_f64 v[117:118], v[57:58], -v[117:118]
	;; [unrolled: 1-line block ×5, first 2 shown]
	v_fma_f64 v[91:92], v[198:199], v[97:98], -v[91:92]
	v_add_f64 v[22:23], v[53:54], -v[22:23]
	v_fma_f64 v[4:5], v[4:5], v[101:102], v[93:94]
	v_fma_f64 v[80:81], v[80:81], v[101:102], -v[103:104]
	v_fma_f64 v[6:7], v[6:7], v[105:106], v[190:191]
	v_fma_f64 v[82:83], v[82:83], v[105:106], -v[107:108]
	v_fma_f64 v[55:56], v[55:56], 2.0, -v[24:25]
	s_waitcnt vmcnt(6) lgkmcnt(6)
	v_mul_f64 v[192:193], v[200:201], v[111:112]
	s_waitcnt vmcnt(5)
	v_mul_f64 v[194:195], v[202:203], v[115:116]
	v_mul_f64 v[111:112], v[0:1], v[111:112]
	;; [unrolled: 1-line block ×3, first 2 shown]
	v_fma_f64 v[59:60], v[59:60], 2.0, -v[76:77]
	v_fma_f64 v[46:47], v[46:47], 2.0, -v[20:21]
	s_waitcnt lgkmcnt(1)
	v_add_f64 v[91:92], v[212:213], -v[91:92]
	v_add_f64 v[4:5], v[42:43], -v[4:5]
	;; [unrolled: 1-line block ×3, first 2 shown]
	v_fma_f64 v[0:1], v[0:1], v[109:110], v[192:193]
	v_fma_f64 v[2:3], v[2:3], v[113:114], v[194:195]
	v_fma_f64 v[93:94], v[200:201], v[109:110], -v[111:112]
	v_fma_f64 v[97:98], v[202:203], v[113:114], -v[115:116]
	s_waitcnt vmcnt(4)
	v_mul_f64 v[196:197], v[16:17], v[170:171]
	s_waitcnt vmcnt(3)
	v_mul_f64 v[204:205], v[18:19], v[174:175]
	v_mul_f64 v[174:175], v[10:11], v[174:175]
	;; [unrolled: 1-line block ×3, first 2 shown]
	v_fma_f64 v[42:43], v[42:43], 2.0, -v[4:5]
	v_add_f64 v[0:1], v[38:39], -v[0:1]
	v_add_f64 v[2:3], v[34:35], -v[2:3]
	v_fma_f64 v[8:9], v[8:9], v[168:169], v[196:197]
	v_fma_f64 v[10:11], v[10:11], v[172:173], v[204:205]
	v_fma_f64 v[101:102], v[18:19], v[172:173], -v[174:175]
	s_waitcnt vmcnt(2)
	v_mul_f64 v[206:207], v[66:67], v[178:179]
	v_mul_f64 v[178:179], v[12:13], v[178:179]
	v_fma_f64 v[18:19], v[57:58], 2.0, -v[117:118]
	s_waitcnt vmcnt(1)
	v_mul_f64 v[208:209], v[68:69], v[182:183]
	v_fma_f64 v[16:17], v[16:17], v[168:169], -v[170:171]
	ds_read_b64 v[103:104], v155
	ds_read_b64 v[105:106], v156
	;; [unrolled: 1-line block ×9, first 2 shown]
	v_mul_f64 v[182:183], v[14:15], v[182:183]
	v_fma_f64 v[38:39], v[38:39], 2.0, -v[0:1]
	s_waitcnt vmcnt(0)
	v_mul_f64 v[216:217], v[99:100], v[186:187]
	v_mul_f64 v[186:187], v[61:62], v[186:187]
	s_waitcnt lgkmcnt(8)
	v_add_f64 v[72:73], v[103:104], -v[72:73]
	v_add_f64 v[8:9], v[44:45], -v[8:9]
	;; [unrolled: 1-line block ×3, first 2 shown]
	s_waitcnt lgkmcnt(7)
	v_add_f64 v[78:79], v[105:106], -v[78:79]
	v_fma_f64 v[12:13], v[12:13], v[176:177], v[206:207]
	v_fma_f64 v[66:67], v[66:67], v[176:177], -v[178:179]
	ds_read_b64 v[172:173], v131
	ds_read_b64 v[174:175], v137
	;; [unrolled: 1-line block ×3, first 2 shown]
	s_waitcnt lgkmcnt(0)
	s_barrier
	buffer_gl0_inv
	ds_write_b64 v149, v[18:19]
	v_fma_f64 v[18:19], v[48:49], 2.0, -v[26:27]
	v_fma_f64 v[14:15], v[14:15], v[180:181], v[208:209]
	v_fma_f64 v[57:58], v[61:62], v[184:185], v[216:217]
	ds_write_b64 v149, v[117:118] offset:2880
	ds_write_b64 v137, v[59:60]
	ds_write_b64 v137, v[76:77] offset:2880
	v_fma_f64 v[48:49], v[53:54], 2.0, -v[22:23]
	ds_write_b64 v131, v[55:56]
	ds_write_b64 v131, v[24:25] offset:2880
	ds_write_b64 v51, v[18:19]
	ds_write_b64 v51, v[26:27] offset:2880
	v_add_f64 v[12:13], v[30:31], -v[12:13]
	v_mul_u32_u24_e32 v53, 0x1680, v63
	v_fma_f64 v[18:19], v[34:35], 2.0, -v[2:3]
	v_lshlrev_b32_sdwa v34, v158, v64 dst_sel:DWORD dst_unused:UNUSED_PAD src0_sel:DWORD src1_sel:WORD_0
	v_add_f64 v[63:64], v[214:215], -v[74:75]
	v_add_f64 v[14:15], v[28:29], -v[14:15]
	v_fma_f64 v[68:69], v[68:69], v[180:181], -v[182:183]
	v_fma_f64 v[24:25], v[40:41], 2.0, -v[6:7]
	v_add_f64 v[40:41], v[36:37], -v[57:58]
	v_fma_f64 v[99:100], v[99:100], v[184:185], -v[186:187]
	v_add_f64 v[76:77], v[174:175], -v[188:189]
	v_add_f64 v[70:71], v[172:173], -v[70:71]
	v_add_f64 v[80:81], v[107:108], -v[80:81]
	v_add_f64 v[82:83], v[109:110], -v[82:83]
	v_add_f64 v[93:94], v[111:112], -v[93:94]
	v_add_nc_u32_e32 v182, 0x1400, v50
	v_add_nc_u32_e32 v183, 0x1c00, v50
	;; [unrolled: 1-line block ×3, first 2 shown]
	v_add_f64 v[97:98], v[113:114], -v[97:98]
	v_add_f64 v[117:118], v[210:211], -v[16:17]
	v_add3_u32 v185, 0, v53, v34
	v_fma_f64 v[26:27], v[44:45], 2.0, -v[8:9]
	ds_write2_b64 v182, v[46:47], v[48:49] offset0:104 offset1:200
	v_fma_f64 v[32:33], v[32:33], 2.0, -v[10:11]
	ds_write2_b64 v183, v[42:43], v[20:21] offset0:40 offset1:208
	ds_write2_b64 v184, v[22:23], v[4:5] offset0:48 offset1:144
	v_fma_f64 v[4:5], v[30:31], 2.0, -v[12:13]
	v_fma_f64 v[74:75], v[214:215], 2.0, -v[63:64]
	v_add_f64 v[101:102], v[115:116], -v[101:102]
	v_lshl_add_u32 v186, v65, 3, 0
	v_fma_f64 v[20:21], v[28:29], 2.0, -v[14:15]
	v_add_f64 v[65:66], v[168:169], -v[66:67]
	ds_write_b64 v185, v[6:7] offset:2880
	v_fma_f64 v[6:7], v[36:37], 2.0, -v[40:41]
	v_add_f64 v[67:68], v[170:171], -v[68:69]
	v_add_f64 v[99:100], v[176:177], -v[99:100]
	v_fma_f64 v[174:175], v[174:175], 2.0, -v[76:77]
	v_fma_f64 v[172:173], v[172:173], 2.0, -v[70:71]
	;; [unrolled: 1-line block ×5, first 2 shown]
	v_lshlrev_b32_sdwa v22, v158, v218 dst_sel:DWORD dst_unused:UNUSED_PAD src0_sel:DWORD src1_sel:WORD_0
	v_mul_u32_u24_e32 v23, 0x1680, v133
	v_fma_f64 v[107:108], v[107:108], 2.0, -v[80:81]
	v_fma_f64 v[109:110], v[109:110], 2.0, -v[82:83]
	v_fma_f64 v[111:112], v[111:112], 2.0, -v[93:94]
	v_lshl_add_u32 v158, v219, 3, 0
	v_add3_u32 v133, 0, v23, v22
	v_fma_f64 v[113:114], v[113:114], 2.0, -v[97:98]
	v_fma_f64 v[180:181], v[210:211], 2.0, -v[117:118]
	v_lshl_add_u32 v187, v220, 3, 0
	ds_write_b64 v185, v[24:25]
	ds_write_b64 v186, v[38:39] offset:11520
	ds_write_b64 v186, v[0:1] offset:14400
	ds_write_b64 v121, v[18:19] offset:11520
	ds_write_b64 v121, v[2:3] offset:14400
	ds_write_b64 v127, v[26:27] offset:11520
	ds_write_b64 v127, v[8:9] offset:14400
	ds_write_b64 v133, v[32:33]
	ds_write_b64 v133, v[10:11] offset:2880
	ds_write_b64 v158, v[4:5] offset:17280
	ds_write_b64 v158, v[12:13] offset:20160
	ds_write_b64 v84, v[20:21] offset:17280
	ds_write_b64 v84, v[14:15] offset:20160
	ds_write_b64 v187, v[6:7] offset:17280
	ds_write_b64 v187, v[40:41] offset:20160
	s_waitcnt lgkmcnt(0)
	s_barrier
	buffer_gl0_inv
	ds_read_b64 v[53:54], v149
	ds_read_b64 v[44:45], v155
	;; [unrolled: 1-line block ×15, first 2 shown]
	ds_read_b64 v[61:62], v149 offset:22272
	ds_read2_b64 v[24:27], v95 offset0:32 offset1:128
	ds_read2_b64 v[20:23], v154 offset0:96 offset1:192
	;; [unrolled: 1-line block ×7, first 2 shown]
	s_waitcnt lgkmcnt(0)
	s_barrier
	buffer_gl0_inv
	ds_write_b64 v149, v[74:75]
	v_fma_f64 v[74:75], v[115:116], 2.0, -v[101:102]
	ds_write_b64 v149, v[63:64] offset:2880
	v_fma_f64 v[63:64], v[168:169], 2.0, -v[65:66]
	v_fma_f64 v[115:116], v[170:171], 2.0, -v[67:68]
	ds_write_b64 v137, v[76:77] offset:2880
	v_fma_f64 v[76:77], v[176:177], 2.0, -v[99:100]
	ds_write_b64 v137, v[174:175]
	ds_write_b64 v131, v[172:173]
	ds_write_b64 v131, v[70:71] offset:2880
	ds_write_b64 v51, v[103:104]
	ds_write_b64 v51, v[72:73] offset:2880
	ds_write2_b64 v182, v[105:106], v[178:179] offset0:104 offset1:200
	ds_write2_b64 v183, v[107:108], v[78:79] offset0:40 offset1:208
	;; [unrolled: 1-line block ×3, first 2 shown]
	ds_write_b64 v185, v[109:110]
	ds_write_b64 v185, v[82:83] offset:2880
	ds_write_b64 v186, v[111:112] offset:11520
	;; [unrolled: 1-line block ×7, first 2 shown]
	ds_write_b64 v133, v[74:75]
	ds_write_b64 v133, v[101:102] offset:2880
	ds_write_b64 v158, v[63:64] offset:17280
	;; [unrolled: 1-line block ×6, first 2 shown]
	v_add_co_u32 v83, s0, 0x2800, v85
	v_add_co_ci_u32_e64 v84, s0, 0, v86, s0
	v_add_co_u32 v63, s0, 0x2800, v87
	v_lshlrev_b64 v[65:66], 4, v[142:143]
	v_add_co_ci_u32_e64 v64, s0, 0, v88, s0
	v_add_co_u32 v67, s0, 0x2800, v89
	v_lshlrev_b64 v[69:70], 4, v[144:145]
	v_add_co_ci_u32_e64 v68, s0, 0, v90, s0
	v_add_co_u32 v91, s0, s12, v65
	v_add_co_ci_u32_e64 v92, s0, s13, v66, s0
	v_add_co_u32 v93, s0, s12, v69
	v_add_co_ci_u32_e64 v94, s0, s13, v70, s0
	v_add_co_u32 v71, s0, 0x2800, v91
	v_lshlrev_b64 v[79:80], 4, v[146:147]
	v_add_co_ci_u32_e64 v72, s0, 0, v92, s0
	v_add_co_u32 v75, s0, 0x2800, v93
	v_add_co_ci_u32_e64 v76, s0, 0, v94, s0
	v_add_co_u32 v97, s0, s12, v79
	v_add_co_ci_u32_e64 v98, s0, s13, v80, s0
	v_subrev_nc_u32_e32 v51, 48, v120
	v_cmp_gt_u32_e64 s0, 48, v120
	v_lshlrev_b64 v[79:80], 4, v[140:141]
	ds_write_b64 v187, v[99:100] offset:20160
	v_add_nc_u32_e32 v105, 0x90, v120
	v_mov_b32_e32 v106, v52
	v_cndmask_b32_e64 v51, v51, v128, s0
	v_add_co_u32 v81, s0, 0x2800, v97
	v_add_co_ci_u32_e64 v82, s0, 0, v98, s0
	v_lshlrev_b64 v[101:102], 4, v[51:52]
	v_add_co_u32 v99, s0, s12, v79
	v_add_co_ci_u32_e64 v100, s0, s13, v80, s0
	v_lshlrev_b64 v[115:116], 4, v[105:106]
	v_add_co_u32 v79, s0, s12, v101
	v_add_co_ci_u32_e64 v80, s0, s13, v102, s0
	v_add_co_u32 v101, s0, 0x2800, v99
	v_add_co_ci_u32_e64 v102, s0, 0, v100, s0
	v_add_co_u32 v113, s0, 0x2800, v79
	s_waitcnt lgkmcnt(0)
	s_barrier
	buffer_gl0_inv
	s_clause 0x3
	global_load_dwordx4 v[63:66], v[63:64], off offset:1120
	global_load_dwordx4 v[67:70], v[67:68], off offset:1120
	global_load_dwordx4 v[71:74], v[71:72], off offset:1120
	global_load_dwordx4 v[75:78], v[75:76], off offset:1120
	v_add_co_ci_u32_e64 v114, s0, 0, v80, s0
	s_clause 0x3
	global_load_dwordx4 v[79:82], v[81:82], off offset:1120
	global_load_dwordx4 v[101:104], v[101:102], off offset:1120
	global_load_dwordx4 v[105:108], v[83:84], off offset:1120
	global_load_dwordx4 v[109:112], v[83:84], off offset:1888
	v_add_nc_u32_e32 v83, 0xf0, v120
	v_mov_b32_e32 v84, v52
	v_add_co_u32 v115, s0, s12, v115
	v_add_co_ci_u32_e64 v116, s0, s13, v116, s0
	v_lshlrev_b64 v[83:84], 4, v[83:84]
	v_add_co_u32 v117, s0, 0x2800, v115
	v_add_co_ci_u32_e64 v118, s0, 0, v116, s0
	v_add_nc_u32_e32 v115, 0x150, v120
	v_mov_b32_e32 v116, v52
	v_add_co_u32 v121, s0, s12, v83
	v_add_co_ci_u32_e64 v127, s0, s13, v84, s0
	v_lshlrev_b64 v[83:84], 4, v[115:116]
	v_add_co_u32 v144, s0, 0x2800, v121
	v_add_co_ci_u32_e64 v145, s0, 0, v127, s0
	v_add_nc_u32_e32 v172, 0x270, v120
	v_add_co_u32 v115, s0, s12, v83
	v_add_co_ci_u32_e64 v116, s0, s13, v84, s0
	v_add_nc_u32_e32 v83, 0x1b0, v120
	v_mov_b32_e32 v84, v52
	v_add_co_u32 v168, s0, 0x2800, v115
	v_add_co_ci_u32_e64 v169, s0, 0, v116, s0
	v_lshlrev_b64 v[83:84], 4, v[83:84]
	s_clause 0x1
	global_load_dwordx4 v[113:116], v[113:114], off offset:1120
	global_load_dwordx4 v[140:143], v[117:118], off offset:1120
	v_add_nc_u32_e32 v117, 0x210, v120
	v_mov_b32_e32 v118, v52
	v_mov_b32_e32 v173, v52
	s_clause 0x1
	global_load_dwordx4 v[144:147], v[144:145], off offset:1120
	global_load_dwordx4 v[168:171], v[168:169], off offset:1120
	v_add_co_u32 v121, s0, s12, v83
	v_add_co_ci_u32_e64 v127, s0, s13, v84, s0
	v_lshlrev_b64 v[83:84], 4, v[117:118]
	v_add_co_u32 v117, s0, 0x2800, v121
	v_add_co_ci_u32_e64 v118, s0, 0, v127, s0
	v_add_nc_u32_e32 v158, 0x3000, v50
	v_add_co_u32 v121, s0, s12, v83
	v_add_co_ci_u32_e64 v127, s0, s13, v84, s0
	v_lshlrev_b64 v[83:84], 4, v[172:173]
	v_add_co_u32 v176, s0, 0x2800, v121
	v_add_co_ci_u32_e64 v177, s0, 0, v127, s0
	s_clause 0x1
	global_load_dwordx4 v[172:175], v[117:118], off offset:1120
	global_load_dwordx4 v[176:179], v[176:177], off offset:1120
	v_add_co_u32 v83, s0, s12, v83
	v_add_co_ci_u32_e64 v84, s0, s13, v84, s0
	v_add_nc_u32_e32 v127, 0x2c00, v50
	v_add_co_u32 v83, s0, 0x2800, v83
	v_add_co_ci_u32_e64 v84, s0, 0, v84, s0
	v_cmp_lt_u32_e64 s0, 47, v120
	v_add_nc_u32_e32 v133, 0x4800, v50
	global_load_dwordx4 v[180:183], v[83:84], off offset:1120
	ds_read2_b64 v[184:187], v95 offset0:32 offset1:128
	ds_read2_b64 v[188:191], v154 offset0:96 offset1:192
	;; [unrolled: 1-line block ×5, first 2 shown]
	s_waitcnt vmcnt(14) lgkmcnt(4)
	v_mul_f64 v[117:118], v[186:187], v[65:66]
	v_mul_f64 v[65:66], v[26:27], v[65:66]
	s_waitcnt vmcnt(12) lgkmcnt(3)
	v_mul_f64 v[206:207], v[190:191], v[73:74]
	v_mul_f64 v[73:74], v[22:23], v[73:74]
	;; [unrolled: 1-line block ×4, first 2 shown]
	s_waitcnt vmcnt(8)
	v_mul_f64 v[83:84], v[184:185], v[107:108]
	v_mul_f64 v[107:108], v[24:25], v[107:108]
	s_waitcnt lgkmcnt(2)
	v_mul_f64 v[208:209], v[192:193], v[77:78]
	v_mul_f64 v[77:78], v[16:17], v[77:78]
	;; [unrolled: 1-line block ×3, first 2 shown]
	v_fma_f64 v[22:23], v[22:23], v[71:72], v[206:207]
	v_fma_f64 v[20:21], v[20:21], v[67:68], v[204:205]
	v_fma_f64 v[83:84], v[24:25], v[105:106], v[83:84]
	v_fma_f64 v[105:106], v[184:185], v[105:106], -v[107:108]
	v_fma_f64 v[107:108], v[26:27], v[63:64], v[117:118]
	ds_read2_b64 v[24:27], v153 offset0:96 offset1:192
	v_fma_f64 v[117:118], v[186:187], v[63:64], -v[65:66]
	ds_read2_b64 v[63:66], v157 offset0:32 offset1:128
	v_fma_f64 v[186:187], v[190:191], v[71:72], -v[73:74]
	ds_read_b64 v[71:72], v149 offset:22272
	v_fma_f64 v[184:185], v[188:189], v[67:68], -v[69:70]
	v_fma_f64 v[16:17], v[16:17], v[75:76], v[208:209]
	v_fma_f64 v[188:189], v[192:193], v[75:76], -v[77:78]
	v_fma_f64 v[67:68], v[18:19], v[79:80], v[210:211]
	v_mul_f64 v[18:19], v[18:19], v[81:82]
	s_waitcnt lgkmcnt(4)
	v_mul_f64 v[69:70], v[196:197], v[103:104]
	v_mul_f64 v[73:74], v[8:9], v[103:104]
	s_waitcnt vmcnt(6)
	v_mul_f64 v[75:76], v[198:199], v[115:116]
	v_mul_f64 v[77:78], v[10:11], v[115:116]
	s_waitcnt lgkmcnt(3)
	v_mul_f64 v[81:82], v[200:201], v[111:112]
	v_mul_f64 v[103:104], v[12:13], v[111:112]
	s_waitcnt vmcnt(5)
	v_mul_f64 v[111:112], v[202:203], v[142:143]
	v_mul_f64 v[115:116], v[14:15], v[142:143]
	v_add_f64 v[20:21], v[57:58], -v[20:21]
	v_add_f64 v[83:84], v[53:54], -v[83:84]
	s_waitcnt vmcnt(4) lgkmcnt(2)
	v_mul_f64 v[142:143], v[24:25], v[146:147]
	s_waitcnt vmcnt(3)
	v_mul_f64 v[190:191], v[26:27], v[170:171]
	v_mul_f64 v[146:147], v[4:5], v[146:147]
	v_mul_f64 v[170:171], v[6:7], v[170:171]
	v_add_f64 v[22:23], v[44:45], -v[22:23]
	ds_read_b64 v[206:207], v151
	ds_read_b64 v[208:209], v150
	;; [unrolled: 1-line block ×3, first 2 shown]
	v_add_f64 v[16:17], v[42:43], -v[16:17]
	v_fma_f64 v[18:19], v[194:195], v[79:80], -v[18:19]
	v_fma_f64 v[8:9], v[8:9], v[101:102], v[69:70]
	v_add_f64 v[69:70], v[59:60], -v[107:108]
	v_fma_f64 v[10:11], v[10:11], v[113:114], v[75:76]
	v_fma_f64 v[101:102], v[196:197], v[101:102], -v[73:74]
	s_waitcnt vmcnt(2) lgkmcnt(4)
	v_mul_f64 v[192:193], v[63:64], v[174:175]
	s_waitcnt vmcnt(1)
	v_mul_f64 v[204:205], v[65:66], v[178:179]
	v_mul_f64 v[174:175], v[0:1], v[174:175]
	v_fma_f64 v[12:13], v[12:13], v[109:110], v[81:82]
	v_fma_f64 v[14:15], v[14:15], v[140:141], v[111:112]
	v_mul_f64 v[178:179], v[2:3], v[178:179]
	v_fma_f64 v[4:5], v[4:5], v[144:145], v[142:143]
	v_fma_f64 v[6:7], v[6:7], v[168:169], v[190:191]
	v_fma_f64 v[53:54], v[53:54], 2.0, -v[83:84]
	v_fma_f64 v[57:58], v[57:58], 2.0, -v[20:21]
	;; [unrolled: 1-line block ×3, first 2 shown]
	v_fma_f64 v[103:104], v[200:201], v[109:110], -v[103:104]
	v_fma_f64 v[109:110], v[202:203], v[140:141], -v[115:116]
	;; [unrolled: 1-line block ×3, first 2 shown]
	s_waitcnt vmcnt(0) lgkmcnt(3)
	v_mul_f64 v[212:213], v[71:72], v[182:183]
	v_mul_f64 v[79:80], v[61:62], v[182:183]
	v_fma_f64 v[42:43], v[42:43], 2.0, -v[16:17]
	v_fma_f64 v[26:27], v[26:27], v[168:169], -v[170:171]
	v_add_f64 v[8:9], v[36:37], -v[8:9]
	v_fma_f64 v[59:60], v[59:60], 2.0, -v[69:70]
	v_add_f64 v[10:11], v[34:35], -v[10:11]
	v_fma_f64 v[113:114], v[198:199], v[113:114], -v[77:78]
	v_fma_f64 v[0:1], v[0:1], v[172:173], v[192:193]
	v_fma_f64 v[2:3], v[2:3], v[176:177], v[204:205]
	v_fma_f64 v[107:108], v[63:64], v[172:173], -v[174:175]
	v_add_f64 v[63:64], v[55:56], -v[67:68]
	v_add_f64 v[12:13], v[38:39], -v[12:13]
	;; [unrolled: 1-line block ×5, first 2 shown]
	v_fma_f64 v[111:112], v[65:66], v[176:177], -v[178:179]
	ds_read_b64 v[140:141], v155
	ds_read_b64 v[142:143], v156
	;; [unrolled: 1-line block ×9, first 2 shown]
	v_add_nc_u32_e32 v190, 0x4c00, v50
	v_add_nc_u32_e32 v191, 0x3800, v50
	;; [unrolled: 1-line block ×4, first 2 shown]
	v_fma_f64 v[61:62], v[61:62], v[180:181], v[212:213]
	v_fma_f64 v[115:116], v[71:72], v[180:181], -v[79:80]
	ds_read_b64 v[178:179], v131
	ds_read_b64 v[180:181], v137
	;; [unrolled: 1-line block ×3, first 2 shown]
	s_waitcnt lgkmcnt(0)
	s_barrier
	buffer_gl0_inv
	ds_write_b64 v149, v[53:54]
	ds_write_b64 v149, v[83:84] offset:5760
	v_add_f64 v[0:1], v[30:31], -v[0:1]
	v_add_f64 v[2:3], v[32:33], -v[2:3]
	ds_write_b64 v137, v[59:60]
	ds_write_b64 v137, v[69:70] offset:5760
	v_fma_f64 v[36:37], v[36:37], 2.0, -v[8:9]
	ds_write_b64 v131, v[57:58]
	ds_write_b64 v131, v[20:21] offset:5760
	v_fma_f64 v[20:21], v[34:35], 2.0, -v[10:11]
	ds_write_b64 v155, v[44:45]
	ds_write_b64 v155, v[22:23] offset:5760
	ds_write_b64 v156, v[42:43]
	v_fma_f64 v[22:23], v[48:49], 2.0, -v[4:5]
	v_fma_f64 v[28:29], v[28:29], 2.0, -v[6:7]
	;; [unrolled: 1-line block ×5, first 2 shown]
	v_cndmask_b32_e64 v44, 0, 0x2d00, s0
	v_lshlrev_b32_e32 v45, 3, v51
	v_add_f64 v[53:54], v[46:47], -v[61:62]
	v_add_f64 v[34:35], v[210:211], -v[105:106]
	ds_write_b64 v156, v[16:17] offset:5760
	ds_write_b64 v150, v[55:56]
	ds_write_b64 v150, v[63:64] offset:5760
	v_fma_f64 v[30:31], v[30:31], 2.0, -v[0:1]
	v_fma_f64 v[32:33], v[32:33], 2.0, -v[2:3]
	v_add3_u32 v121, 0, v44, v45
	ds_write_b64 v96, v[36:37]
	ds_write_b64 v96, v[8:9] offset:5760
	v_add_f64 v[44:45], v[146:147], -v[113:114]
	v_fma_f64 v[42:43], v[46:47], 2.0, -v[53:54]
	v_add_f64 v[46:47], v[168:169], -v[103:104]
	ds_write_b64 v121, v[20:21]
	ds_write_b64 v121, v[10:11] offset:5760
	ds_write2_b64 v127, v[38:39], v[40:41] offset0:80 offset1:176
	ds_write2_b64 v133, v[14:15], v[4:5] offset1:96
	ds_write2_b64 v158, v[22:23], v[28:29] offset0:144 offset1:240
	ds_write2_b64 v190, v[6:7], v[0:1] offset0:64 offset1:160
	;; [unrolled: 1-line block ×5, first 2 shown]
	v_add_f64 v[28:29], v[180:181], -v[117:118]
	v_add_f64 v[30:31], v[178:179], -v[184:185]
	;; [unrolled: 1-line block ×6, first 2 shown]
	s_waitcnt lgkmcnt(0)
	s_barrier
	buffer_gl0_inv
	ds_read_b64 v[57:58], v149
	ds_read_b64 v[59:60], v155
	ds_read_b64 v[65:66], v156
	ds_read_b64 v[71:72], v96
	ds_read_b64 v[53:54], v159
	ds_read_b64 v[55:56], v161
	ds_read_b64 v[61:62], v162
	ds_read_b64 v[63:64], v163
	ds_read_b64 v[67:68], v165
	ds_read_b64 v[69:70], v166
	v_add_f64 v[48:49], v[170:171], -v[109:110]
	v_add_f64 v[50:51], v[206:207], -v[24:25]
	;; [unrolled: 1-line block ×6, first 2 shown]
	v_fma_f64 v[36:37], v[210:211], 2.0, -v[34:35]
	ds_read_b64 v[75:76], v131
	ds_read_b64 v[77:78], v137
	;; [unrolled: 1-line block ×5, first 2 shown]
	ds_read_b64 v[83:84], v149 offset:22272
	ds_read2_b64 v[0:3], v95 offset0:32 offset1:128
	ds_read2_b64 v[8:11], v154 offset0:96 offset1:192
	;; [unrolled: 1-line block ×4, first 2 shown]
	v_fma_f64 v[109:110], v[180:181], 2.0, -v[28:29]
	ds_read2_b64 v[12:15], v164 offset0:32 offset1:128
	ds_read2_b64 v[16:19], v153 offset0:96 offset1:192
	;; [unrolled: 1-line block ×3, first 2 shown]
	v_fma_f64 v[111:112], v[178:179], 2.0, -v[30:31]
	v_fma_f64 v[113:114], v[140:141], 2.0, -v[32:33]
	;; [unrolled: 1-line block ×13, first 2 shown]
	s_waitcnt lgkmcnt(0)
	s_barrier
	buffer_gl0_inv
	ds_write_b64 v149, v[36:37]
	ds_write_b64 v149, v[34:35] offset:5760
	ds_write_b64 v137, v[109:110]
	ds_write_b64 v137, v[28:29] offset:5760
	;; [unrolled: 2-line block ×8, first 2 shown]
	ds_write2_b64 v127, v[144:145], v[146:147] offset0:80 offset1:176
	ds_write2_b64 v133, v[48:49], v[50:51] offset1:96
	ds_write2_b64 v158, v[168:169], v[170:171] offset0:144 offset1:240
	ds_write2_b64 v190, v[101:102], v[103:104] offset0:64 offset1:160
	;; [unrolled: 1-line block ×5, first 2 shown]
	s_waitcnt lgkmcnt(0)
	s_barrier
	buffer_gl0_inv
	s_and_saveexec_b32 s0, vcc_lo
	s_cbranch_execz .LBB0_15
; %bb.14:
	v_mov_b32_e32 v140, v52
	v_mov_b32_e32 v137, v52
	;; [unrolled: 1-line block ×3, first 2 shown]
	v_lshrrev_b32_e32 v147, 5, v120
	v_add_nc_u32_e32 v192, 0x120, v120
	v_lshlrev_b64 v[28:29], 4, v[139:140]
	v_lshlrev_b64 v[30:31], 4, v[136:137]
	v_mov_b32_e32 v139, v52
	v_mov_b32_e32 v136, v52
	v_add_nc_u32_e32 v193, 0x180, v120
	v_lshrrev_b32_e32 v194, 5, v192
	v_add_co_u32 v28, vcc_lo, s12, v28
	v_add_co_ci_u32_e32 v29, vcc_lo, s13, v29, vcc_lo
	v_add_co_u32 v32, vcc_lo, s12, v30
	v_add_co_ci_u32_e32 v33, vcc_lo, s13, v31, vcc_lo
	v_add_co_u32 v28, vcc_lo, 0x5800, v28
	v_lshlrev_b64 v[30:31], 4, v[130:131]
	v_add_co_ci_u32_e32 v29, vcc_lo, 0, v29, vcc_lo
	v_add_co_u32 v32, vcc_lo, 0x5800, v32
	v_add_co_ci_u32_e32 v33, vcc_lo, 0, v33, vcc_lo
	v_add_co_u32 v34, vcc_lo, s12, v30
	v_add_co_ci_u32_e32 v35, vcc_lo, s13, v31, vcc_lo
	v_lshlrev_b64 v[30:31], 4, v[138:139]
	v_add_co_u32 v34, vcc_lo, 0x5800, v34
	v_add_co_ci_u32_e32 v35, vcc_lo, 0, v35, vcc_lo
	v_mov_b32_e32 v130, v52
	v_add_co_u32 v36, vcc_lo, s12, v30
	v_add_co_ci_u32_e32 v37, vcc_lo, s13, v31, vcc_lo
	v_lshlrev_b64 v[30:31], 4, v[135:136]
	v_add_co_u32 v36, vcc_lo, 0x5800, v36
	v_lshlrev_b64 v[38:39], 4, v[129:130]
	v_add_co_ci_u32_e32 v37, vcc_lo, 0, v37, vcc_lo
	v_add_co_u32 v30, vcc_lo, s12, v30
	v_add_co_ci_u32_e32 v31, vcc_lo, s13, v31, vcc_lo
	v_add_co_u32 v38, vcc_lo, s12, v38
	;; [unrolled: 2-line block ×8, first 2 shown]
	v_add_co_ci_u32_e32 v106, vcc_lo, 0, v92, vcc_lo
	s_clause 0x9
	global_load_dwordx4 v[48:51], v[28:29], off offset:352
	global_load_dwordx4 v[44:47], v[32:33], off offset:352
	;; [unrolled: 1-line block ×10, first 2 shown]
	v_add_co_u32 v89, vcc_lo, 0x5800, v89
	v_add_co_ci_u32_e32 v90, vcc_lo, 0, v90, vcc_lo
	v_add_co_u32 v109, vcc_lo, 0x5800, v87
	v_add_co_ci_u32_e32 v110, vcc_lo, 0, v88, vcc_lo
	;; [unrolled: 2-line block ×3, first 2 shown]
	s_clause 0x2
	global_load_dwordx4 v[86:89], v[89:90], off offset:352
	global_load_dwordx4 v[109:112], v[109:110], off offset:352
	;; [unrolled: 1-line block ×3, first 2 shown]
	v_mov_b32_e32 v135, v52
	v_mov_b32_e32 v129, v52
	v_lshrrev_b32_e32 v195, 5, v193
	v_add_nc_u32_e32 v230, 0x1e0, v120
	v_mul_hi_u32 v194, 0x5b05b06, v194
	v_lshlrev_b64 v[117:118], 4, v[134:135]
	v_lshlrev_b64 v[127:128], 4, v[128:129]
	v_lshrrev_b32_e32 v196, 5, v230
	v_add_co_u32 v52, vcc_lo, s12, v117
	v_add_co_ci_u32_e32 v85, vcc_lo, s13, v118, vcc_lo
	v_add_co_u32 v90, vcc_lo, s12, v127
	v_add_co_ci_u32_e32 v121, vcc_lo, s13, v128, vcc_lo
	;; [unrolled: 2-line block ×4, first 2 shown]
	s_clause 0x1
	global_load_dwordx4 v[127:130], v[117:118], off offset:352
	global_load_dwordx4 v[133:136], v[133:134], off offset:352
	v_mul_i32_i24_e32 v52, 0xffffffb8, v126
	v_lshlrev_b64 v[121:122], 4, v[122:123]
	v_add_nc_u32_e32 v123, 0x60, v120
	v_mul_i32_i24_e32 v85, 0xffffffb8, v132
	v_mul_lo_u32 v90, s5, v124
	v_mul_lo_u32 v126, s4, v125
	v_mad_u64_u32 v[117:118], null, s4, v124, 0
	ds_read_b64 v[131:132], v167
	ds_read_b64 v[145:146], v166
	ds_read2_b64 v[137:140], v157 offset0:32 offset1:128
	ds_read2_b64 v[141:144], v153 offset0:96 offset1:192
	;; [unrolled: 1-line block ×3, first 2 shown]
	ds_read_b64 v[164:165], v165
	ds_read_b64 v[174:175], v163
	;; [unrolled: 1-line block ×4, first 2 shown]
	ds_read2_b64 v[160:163], v160 offset0:96 offset1:192
	ds_read2_b64 v[170:173], v152 offset0:32 offset1:128
	ds_read_b64 v[180:181], v159
	ds_read_b64 v[124:125], v96
	;; [unrolled: 1-line block ×4, first 2 shown]
	ds_read2_b64 v[152:155], v154 offset0:96 offset1:192
	ds_read2_b64 v[156:159], v95 offset0:32 offset1:128
	ds_read_b64 v[186:187], v151
	ds_read_b64 v[150:151], v150
	ds_read_b64 v[95:96], v149 offset:22272
	ds_read_b64 v[188:189], v149
	v_add_nc_u32_e32 v149, 0xc0, v120
	v_add_nc_u32_e32 v52, v119, v52
	v_mul_hi_u32 v119, 0x5b05b06, v147
	v_lshrrev_b32_e32 v190, 5, v123
	v_add_nc_u32_e32 v85, v148, v85
	v_lshrrev_b32_e32 v191, 5, v149
	v_add3_u32 v118, v118, v126, v90
	v_mul_hi_u32 v231, 0x5b05b06, v196
	v_mul_hi_u32 v90, 0x5b05b06, v190
	ds_read_b64 v[147:148], v85
	v_mul_hi_u32 v126, 0x5b05b06, v191
	ds_read_b64 v[190:191], v52
	v_mul_u32_u24_e32 v85, 0x5a0, v119
	v_mul_hi_u32 v119, 0x5b05b06, v195
	v_lshlrev_b64 v[117:118], 4, v[117:118]
	v_mul_u32_u24_e32 v195, 0x5a0, v194
	v_mul_u32_u24_e32 v52, 0x5a0, v90
	v_sub_nc_u32_e32 v200, v120, v85
	v_mul_u32_u24_e32 v85, 0x5a0, v126
	v_add_co_u32 v197, vcc_lo, s10, v117
	v_mul_u32_u24_e32 v196, 0x5a0, v119
	v_add_co_ci_u32_e32 v198, vcc_lo, s11, v118, vcc_lo
	v_mad_u64_u32 v[117:118], null, s2, v200, 0
	v_add_nc_u32_e32 v208, 0x5a0, v200
	v_sub_nc_u32_e32 v123, v123, v52
	v_sub_nc_u32_e32 v149, v149, v85
	;; [unrolled: 1-line block ×3, first 2 shown]
	v_add_co_u32 v52, vcc_lo, v197, v121
	v_sub_nc_u32_e32 v193, v193, v196
	v_add_co_ci_u32_e32 v85, vcc_lo, v198, v122, vcc_lo
	v_mad_u64_u32 v[121:122], null, s2, v208, 0
	v_mad_u32_u24 v209, 0xb40, v90, v123
	v_mad_u32_u24 v126, 0xb40, v126, v149
	;; [unrolled: 1-line block ×3, first 2 shown]
	v_mov_b32_e32 v90, v118
	v_mad_u32_u24 v232, 0xb40, v119, v193
	v_mad_u64_u32 v[192:193], null, s2, v209, 0
	v_add_nc_u32_e32 v212, 0x5a0, v209
	v_mad_u64_u32 v[194:195], null, s2, v126, 0
	v_add_nc_u32_e32 v213, 0x5a0, v126
	v_mad_u64_u32 v[196:197], null, s2, v149, 0
	v_add_nc_u32_e32 v214, 0x5a0, v149
	v_add_nc_u32_e32 v233, 0x5a0, v232
	v_mad_u64_u32 v[202:203], null, s2, v213, 0
	v_mad_u64_u32 v[198:199], null, s2, v232, 0
	;; [unrolled: 1-line block ×4, first 2 shown]
	s_waitcnt vmcnt(14)
	v_mul_f64 v[222:223], v[83:84], v[50:51]
	s_waitcnt lgkmcnt(3)
	v_mul_f64 v[50:51], v[95:96], v[50:51]
	s_waitcnt vmcnt(13)
	v_mul_f64 v[224:225], v[22:23], v[46:47]
	s_waitcnt vmcnt(8)
	v_mad_u64_u32 v[118:119], null, s3, v200, v[90:91]
	v_mov_b32_e32 v90, v122
	v_mad_u64_u32 v[200:201], null, s2, v212, 0
	v_mov_b32_e32 v119, v195
	v_mul_f64 v[46:47], v[139:140], v[46:47]
	v_mad_u64_u32 v[122:123], null, s3, v208, v[90:91]
	v_mov_b32_e32 v90, v193
	v_mov_b32_e32 v123, v197
	v_lshlrev_b64 v[117:118], 4, v[117:118]
	v_mul_f64 v[226:227], v[20:21], v[42:43]
	v_mul_f64 v[228:229], v[18:19], v[34:35]
	v_mad_u64_u32 v[208:209], null, s3, v209, v[90:91]
	v_mov_b32_e32 v90, v201
	v_mad_u64_u32 v[209:210], null, s3, v126, v[119:120]
	v_mov_b32_e32 v119, v203
	v_mad_u64_u32 v[210:211], null, s3, v149, v[123:124]
	v_mad_u64_u32 v[211:212], null, s3, v212, v[90:91]
	;; [unrolled: 1-line block ×3, first 2 shown]
	v_mov_b32_e32 v193, v208
	v_lshlrev_b64 v[121:122], 4, v[121:122]
	v_mov_b32_e32 v195, v209
	v_mov_b32_e32 v197, v210
	v_add_co_u32 v208, vcc_lo, v52, v117
	v_add_co_ci_u32_e32 v209, vcc_lo, v85, v118, vcc_lo
	v_lshlrev_b64 v[117:118], 4, v[192:193]
	v_mov_b32_e32 v201, v211
	v_mov_b32_e32 v203, v212
	v_lshlrev_b64 v[192:193], 4, v[194:195]
	v_lshlrev_b64 v[194:195], 4, v[196:197]
	v_add_co_u32 v196, vcc_lo, v52, v121
	v_mov_b32_e32 v123, v205
	v_add_co_ci_u32_e32 v197, vcc_lo, v85, v122, vcc_lo
	v_lshlrev_b64 v[121:122], 4, v[200:201]
	v_lshlrev_b64 v[200:201], 4, v[202:203]
	v_add_co_u32 v202, vcc_lo, v52, v117
	v_add_co_ci_u32_e32 v203, vcc_lo, v85, v118, vcc_lo
	v_mad_u64_u32 v[213:214], null, s3, v214, v[123:124]
	v_add_co_u32 v118, vcc_lo, v52, v192
	v_add_co_ci_u32_e32 v119, vcc_lo, v85, v193, vcc_lo
	v_mul_f64 v[210:211], v[4:5], v[93:94]
	v_mul_f64 v[93:94], v[160:161], v[93:94]
	s_waitcnt vmcnt(5)
	v_mul_f64 v[214:215], v[10:11], v[107:108]
	v_mul_f64 v[107:108], v[154:155], v[107:108]
	s_waitcnt vmcnt(4)
	v_mul_f64 v[216:217], v[8:9], v[88:89]
	s_waitcnt vmcnt(2)
	v_mul_f64 v[220:221], v[0:1], v[115:116]
	v_mul_f64 v[115:116], v[156:157], v[115:116]
	v_add_co_u32 v192, vcc_lo, v52, v194
	v_mul_f64 v[88:89], v[152:153], v[88:89]
	v_mul_f64 v[218:219], v[2:3], v[111:112]
	;; [unrolled: 1-line block ×3, first 2 shown]
	v_add_co_ci_u32_e32 v193, vcc_lo, v85, v195, vcc_lo
	v_add_co_u32 v194, vcc_lo, v52, v121
	v_mov_b32_e32 v205, v213
	v_add_co_ci_u32_e32 v195, vcc_lo, v85, v122, vcc_lo
	v_mul_f64 v[121:122], v[26:27], v[99:100]
	v_mul_f64 v[99:100], v[172:173], v[99:100]
	v_mul_f64 v[212:213], v[24:25], v[103:104]
	v_mul_f64 v[103:104], v[170:171], v[103:104]
	v_mul_f64 v[34:35], v[143:144], v[34:35]
	v_fma_f64 v[160:161], v[91:92], v[160:161], -v[210:211]
	v_fma_f64 v[4:5], v[4:5], v[91:92], v[93:94]
	v_fma_f64 v[90:91], v[105:106], v[154:155], -v[214:215]
	v_fma_f64 v[10:11], v[10:11], v[105:106], v[107:108]
	v_fma_f64 v[92:93], v[86:87], v[152:153], -v[216:217]
	v_fma_f64 v[105:106], v[113:114], v[156:157], -v[220:221]
	v_fma_f64 v[0:1], v[0:1], v[113:114], v[115:116]
	v_fma_f64 v[8:9], v[8:9], v[86:87], v[88:89]
	v_fma_f64 v[86:87], v[109:110], v[158:159], -v[218:219]
	v_fma_f64 v[2:3], v[2:3], v[109:110], v[111:112]
	v_mul_f64 v[42:43], v[137:138], v[42:43]
	v_fma_f64 v[83:84], v[83:84], v[48:49], v[50:51]
	v_fma_f64 v[107:108], v[44:45], v[139:140], -v[224:225]
	v_fma_f64 v[22:23], v[22:23], v[44:45], v[46:47]
	v_fma_f64 v[109:110], v[40:41], v[137:138], -v[226:227]
	v_fma_f64 v[94:95], v[48:49], v[95:96], -v[222:223]
	v_add_co_u32 v200, vcc_lo, v52, v200
	v_fma_f64 v[26:27], v[26:27], v[97:98], v[99:100]
	v_fma_f64 v[99:100], v[101:102], v[170:171], -v[212:213]
	v_mul_f64 v[170:171], v[14:15], v[38:39]
	v_mul_f64 v[38:39], v[168:169], v[38:39]
	v_fma_f64 v[121:122], v[97:98], v[172:173], -v[121:122]
	v_fma_f64 v[24:25], v[24:25], v[101:102], v[103:104]
	s_waitcnt vmcnt(1)
	v_mul_f64 v[101:102], v[12:13], v[129:130]
	v_mul_f64 v[103:104], v[166:167], v[129:130]
	s_waitcnt vmcnt(0)
	v_mul_f64 v[129:130], v[6:7], v[135:136]
	v_mul_f64 v[135:136], v[162:163], v[135:136]
	v_fma_f64 v[18:19], v[18:19], v[32:33], v[34:35]
	v_add_f64 v[34:35], v[124:125], -v[160:161]
	v_add_f64 v[46:47], v[184:185], -v[90:91]
	s_waitcnt lgkmcnt(1)
	v_add_f64 v[50:51], v[147:148], -v[92:93]
	v_add_f64 v[92:93], v[188:189], -v[105:106]
	;; [unrolled: 1-line block ×3, first 2 shown]
	v_mul_f64 v[97:98], v[16:17], v[30:31]
	s_waitcnt lgkmcnt(0)
	v_add_f64 v[88:89], v[190:191], -v[86:87]
	v_add_f64 v[86:87], v[77:78], -v[2:3]
	;; [unrolled: 1-line block ×3, first 2 shown]
	v_mul_f64 v[30:31], v[141:142], v[30:31]
	v_fma_f64 v[20:21], v[20:21], v[40:41], v[42:43]
	v_add_f64 v[44:45], v[59:60], -v[10:11]
	v_add_f64 v[10:11], v[164:165], -v[109:110]
	v_fma_f64 v[113:114], v[36:37], v[168:169], -v[170:171]
	v_fma_f64 v[14:15], v[14:15], v[36:37], v[38:39]
	v_add_f64 v[38:39], v[150:151], -v[121:122]
	v_add_f64 v[2:3], v[131:132], -v[94:95]
	v_fma_f64 v[101:102], v[127:128], v[166:167], -v[101:102]
	v_fma_f64 v[12:13], v[12:13], v[127:128], v[103:104]
	v_fma_f64 v[103:104], v[133:134], v[162:163], -v[129:130]
	v_fma_f64 v[115:116], v[6:7], v[133:134], v[135:136]
	v_add_f64 v[6:7], v[145:146], -v[107:108]
	v_fma_f64 v[108:109], v[124:125], 2.0, -v[34:35]
	v_add_co_ci_u32_e32 v201, vcc_lo, v85, v201, vcc_lo
	v_fma_f64 v[123:124], v[188:189], 2.0, -v[92:93]
	v_fma_f64 v[121:122], v[57:58], 2.0, -v[90:91]
	v_fma_f64 v[96:97], v[28:29], v[141:142], -v[97:98]
	v_fma_f64 v[127:128], v[190:191], 2.0, -v[88:89]
	v_fma_f64 v[125:126], v[77:78], 2.0, -v[86:87]
	;; [unrolled: 1-line block ×4, first 2 shown]
	v_fma_f64 v[16:17], v[16:17], v[28:29], v[30:31]
	v_add_f64 v[8:9], v[67:68], -v[20:21]
	global_store_dwordx4 v[208:209], v[121:124], off
	global_store_dwordx4 v[196:197], v[90:93], off
	;; [unrolled: 1-line block ×6, first 2 shown]
	v_add_f64 v[94:95], v[61:62], -v[14:15]
	v_lshlrev_b64 v[49:50], 4, v[204:205]
	v_fma_f64 v[111:112], v[32:33], v[143:144], -v[228:229]
	v_add_f64 v[42:43], v[182:183], -v[99:100]
	v_add_f64 v[40:41], v[65:66], -v[24:25]
	v_mov_b32_e32 v48, v199
	v_add_f64 v[30:31], v[186:187], -v[96:97]
	v_add_f64 v[96:97], v[176:177], -v[113:114]
	;; [unrolled: 1-line block ×5, first 2 shown]
	v_fma_f64 v[116:117], v[184:185], 2.0, -v[46:47]
	v_fma_f64 v[114:115], v[59:60], 2.0, -v[44:45]
	v_mov_b32_e32 v51, v207
	v_mul_u32_u24_e32 v77, 0x5a0, v231
	v_add_f64 v[24:25], v[63:64], -v[18:19]
	v_add_f64 v[28:29], v[79:80], -v[16:17]
	v_fma_f64 v[20:21], v[67:68], 2.0, -v[8:9]
	v_mad_u64_u32 v[75:76], null, s3, v233, v[51:52]
	v_sub_nc_u32_e32 v51, v230, v77
	v_add_nc_u32_e32 v77, 0x240, v120
	v_fma_f64 v[67:68], v[61:62], 2.0, -v[94:95]
	v_mad_u64_u32 v[61:62], null, s3, v232, v[48:49]
	v_add_co_u32 v48, vcc_lo, v52, v49
	v_add_co_ci_u32_e32 v49, vcc_lo, v85, v50, vcc_lo
	v_mov_b32_e32 v207, v75
	v_lshrrev_b32_e32 v50, 5, v77
	v_mov_b32_e32 v199, v61
	v_mad_u32_u24 v61, 0xb40, v231, v51
	v_add_f64 v[36:37], v[81:82], -v[26:27]
	v_add_f64 v[26:27], v[174:175], -v[111:112]
	v_fma_f64 v[112:113], v[182:183], 2.0, -v[42:43]
	v_fma_f64 v[110:111], v[65:66], 2.0, -v[40:41]
	v_add_nc_u32_e32 v75, 0x5a0, v61
	global_store_dwordx4 v[192:193], v[114:117], off
	global_store_dwordx4 v[48:49], v[44:47], off
	v_mad_u64_u32 v[46:47], null, s2, v61, 0
	v_mad_u64_u32 v[48:49], null, s2, v75, 0
	v_mul_hi_u32 v78, 0x5b05b06, v50
	v_lshlrev_b64 v[50:51], 4, v[206:207]
	v_lshlrev_b64 v[44:45], 4, v[198:199]
	v_fma_f64 v[57:58], v[63:64], 2.0, -v[24:25]
	v_fma_f64 v[63:64], v[79:80], 2.0, -v[28:29]
	v_add_nc_u32_e32 v80, 0x2a0, v120
	v_mad_u64_u32 v[61:62], null, s3, v61, v[47:48]
	v_mad_u64_u32 v[75:76], null, s3, v75, v[49:50]
	v_add_co_u32 v44, vcc_lo, v52, v44
	v_mul_u32_u24_e32 v79, 0x5a0, v78
	v_lshrrev_b32_e32 v76, 5, v80
	v_add_co_ci_u32_e32 v45, vcc_lo, v85, v45, vcc_lo
	v_add_co_u32 v49, vcc_lo, v52, v50
	v_sub_nc_u32_e32 v62, v77, v79
	v_add_co_ci_u32_e32 v50, vcc_lo, v85, v51, vcc_lo
	v_mul_hi_u32 v51, 0x5b05b06, v76
	v_mov_b32_e32 v47, v61
	v_mad_u32_u24 v61, 0xb40, v78, v62
	global_store_dwordx4 v[44:45], v[110:113], off
	global_store_dwordx4 v[49:50], v[40:43], off
	v_mov_b32_e32 v49, v75
	v_lshlrev_b64 v[40:41], 4, v[46:47]
	v_add_f64 v[0:1], v[73:74], -v[83:84]
	v_mul_u32_u24_e32 v46, 0x5a0, v51
	v_fma_f64 v[83:84], v[150:151], 2.0, -v[38:39]
	v_fma_f64 v[81:82], v[81:82], 2.0, -v[36:37]
	v_mad_u64_u32 v[42:43], null, s2, v61, 0
	v_lshlrev_b64 v[44:45], 4, v[48:49]
	v_add_nc_u32_e32 v62, 0x5a0, v61
	v_sub_nc_u32_e32 v50, v80, v46
	v_add_co_u32 v40, vcc_lo, v52, v40
	v_add_f64 v[32:33], v[71:72], -v[4:5]
	v_mad_u64_u32 v[46:47], null, s2, v62, 0
	v_mad_u64_u32 v[48:49], null, s3, v61, v[43:44]
	v_mad_u32_u24 v51, 0xb40, v51, v50
	v_add_nc_u32_e32 v61, 0x300, v120
	v_add_co_ci_u32_e32 v41, vcc_lo, v85, v41, vcc_lo
	v_add_co_u32 v44, vcc_lo, v52, v44
	v_mad_u64_u32 v[49:50], null, s2, v51, 0
	v_add_f64 v[98:99], v[55:56], -v[12:13]
	v_mov_b32_e32 v43, v48
	v_mad_u64_u32 v[47:48], null, s3, v62, v[47:48]
	v_add_co_ci_u32_e32 v45, vcc_lo, v85, v45, vcc_lo
	v_lshrrev_b32_e32 v48, 5, v61
	global_store_dwordx4 v[40:41], v[81:84], off
	global_store_dwordx4 v[44:45], v[36:39], off
	v_mov_b32_e32 v38, v50
	v_lshlrev_b64 v[36:37], 4, v[42:43]
	v_mul_hi_u32 v43, 0x5b05b06, v48
	v_add_nc_u32_e32 v45, 0x5a0, v51
	v_fma_f64 v[106:107], v[71:72], 2.0, -v[32:33]
	v_mad_u64_u32 v[38:39], null, s3, v51, v[38:39]
	v_fma_f64 v[53:54], v[53:54], 2.0, -v[102:103]
	v_mad_u64_u32 v[39:40], null, s2, v45, 0
	v_mul_u32_u24_e32 v44, 0x5a0, v43
	v_lshlrev_b64 v[41:42], 4, v[46:47]
	v_add_co_u32 v36, vcc_lo, v52, v36
	v_mov_b32_e32 v50, v38
	v_fma_f64 v[71:72], v[55:56], 2.0, -v[98:99]
	v_mov_b32_e32 v38, v40
	v_sub_nc_u32_e32 v40, v61, v44
	v_fma_f64 v[55:56], v[180:181], 2.0, -v[104:105]
	v_add_nc_u32_e32 v61, 0x360, v120
	v_add_co_ci_u32_e32 v37, vcc_lo, v85, v37, vcc_lo
	v_mad_u32_u24 v51, 0xb40, v43, v40
	v_mad_u64_u32 v[45:46], null, s3, v45, v[38:39]
	v_lshlrev_b64 v[43:44], 4, v[49:50]
	v_lshrrev_b32_e32 v50, 5, v61
	v_add_nc_u32_e32 v62, 0x5a0, v51
	v_mad_u64_u32 v[46:47], null, s2, v51, 0
	v_add_co_u32 v41, vcc_lo, v52, v41
	v_mad_u64_u32 v[48:49], null, s2, v62, 0
	v_mov_b32_e32 v40, v45
	v_mul_hi_u32 v45, 0x5b05b06, v50
	v_add_co_ci_u32_e32 v42, vcc_lo, v85, v42, vcc_lo
	v_add_co_u32 v43, vcc_lo, v52, v43
	v_add_co_ci_u32_e32 v44, vcc_lo, v85, v44, vcc_lo
	v_mov_b32_e32 v38, v47
	global_store_dwordx4 v[36:37], v[106:109], off
	global_store_dwordx4 v[41:42], v[32:35], off
	;; [unrolled: 1-line block ×3, first 2 shown]
	v_mov_b32_e32 v34, v49
	v_mul_u32_u24_e32 v36, 0x5a0, v45
	v_add_nc_u32_e32 v43, 0x3c0, v120
	v_mad_u64_u32 v[50:51], null, s3, v51, v[38:39]
	v_mad_u64_u32 v[34:35], null, s3, v62, v[34:35]
	v_sub_nc_u32_e32 v35, v61, v36
	v_lshrrev_b32_e32 v37, 5, v43
	v_lshlrev_b64 v[32:33], 4, v[39:40]
	v_fma_f64 v[12:13], v[73:74], 2.0, -v[0:1]
	v_mov_b32_e32 v47, v50
	v_mad_u32_u24 v44, 0xb40, v45, v35
	v_mul_hi_u32 v45, 0x5b05b06, v37
	v_fma_f64 v[73:74], v[178:179], 2.0, -v[100:101]
	v_add_co_u32 v32, vcc_lo, v52, v32
	v_lshlrev_b64 v[35:36], 4, v[46:47]
	v_mad_u64_u32 v[37:38], null, s2, v44, 0
	v_add_co_ci_u32_e32 v33, vcc_lo, v85, v33, vcc_lo
	v_mov_b32_e32 v49, v34
	v_add_co_u32 v34, vcc_lo, v52, v35
	v_mul_u32_u24_e32 v47, 0x5a0, v45
	v_add_co_ci_u32_e32 v35, vcc_lo, v85, v36, vcc_lo
	v_mov_b32_e32 v36, v38
	v_add_nc_u32_e32 v46, 0x5a0, v44
	v_sub_nc_u32_e32 v38, v43, v47
	v_lshlrev_b64 v[39:40], 4, v[48:49]
	v_add_nc_u32_e32 v49, 0x420, v120
	v_mad_u64_u32 v[43:44], null, s3, v44, v[36:37]
	v_mad_u32_u24 v48, 0xb40, v45, v38
	v_mad_u64_u32 v[41:42], null, s2, v46, 0
	v_add_f64 v[4:5], v[69:70], -v[22:23]
	global_store_dwordx4 v[32:33], v[102:105], off
	v_mad_u64_u32 v[44:45], null, s2, v48, 0
	v_mov_b32_e32 v38, v43
	global_store_dwordx4 v[34:35], v[71:74], off
	v_lshrrev_b32_e32 v35, 5, v49
	v_mov_b32_e32 v36, v42
	v_add_co_u32 v39, vcc_lo, v52, v39
	v_lshlrev_b64 v[33:34], 4, v[37:38]
	v_mul_hi_u32 v38, 0x5b05b06, v35
	v_add_co_ci_u32_e32 v40, vcc_lo, v85, v40, vcc_lo
	v_mov_b32_e32 v32, v45
	v_mad_u64_u32 v[46:47], null, s3, v46, v[36:37]
	global_store_dwordx4 v[39:40], v[98:101], off
	v_add_nc_u32_e32 v43, 0x5a0, v48
	v_mad_u64_u32 v[35:36], null, s3, v48, v[32:33]
	v_mul_u32_u24_e32 v39, 0x5a0, v38
	v_add_nc_u32_e32 v47, 0x480, v120
	v_mov_b32_e32 v42, v46
	v_fma_f64 v[16:17], v[69:70], 2.0, -v[4:5]
	v_fma_f64 v[69:70], v[176:177], 2.0, -v[96:97]
	v_sub_nc_u32_e32 v39, v49, v39
	v_mov_b32_e32 v45, v35
	v_lshlrev_b64 v[36:37], 4, v[41:42]
	v_add_co_u32 v32, vcc_lo, v52, v33
	v_mad_u32_u24 v46, 0xb40, v38, v39
	v_add_co_ci_u32_e32 v33, vcc_lo, v85, v34, vcc_lo
	v_mad_u64_u32 v[34:35], null, s2, v43, 0
	v_lshlrev_b64 v[38:39], 4, v[44:45]
	v_lshrrev_b32_e32 v44, 5, v47
	v_mad_u64_u32 v[40:41], null, s2, v46, 0
	v_add_co_u32 v36, vcc_lo, v52, v36
	v_mul_hi_u32 v49, 0x5b05b06, v44
	v_fma_f64 v[65:66], v[186:187], 2.0, -v[30:31]
	v_add_nc_u32_e32 v48, 0x5a0, v46
	v_mad_u64_u32 v[42:43], null, s3, v43, v[35:36]
	v_mov_b32_e32 v35, v41
	v_add_co_ci_u32_e32 v37, vcc_lo, v85, v37, vcc_lo
	v_mad_u64_u32 v[43:44], null, s2, v48, 0
	v_mul_u32_u24_e32 v41, 0x5a0, v49
	v_mad_u64_u32 v[45:46], null, s3, v46, v[35:36]
	v_mov_b32_e32 v35, v42
	global_store_dwordx4 v[32:33], v[67:70], off
	global_store_dwordx4 v[36:37], v[94:97], off
	v_sub_nc_u32_e32 v36, v47, v41
	v_add_co_u32 v38, vcc_lo, v52, v38
	v_lshlrev_b64 v[32:33], 4, v[34:35]
	v_mov_b32_e32 v34, v44
	v_mov_b32_e32 v41, v45
	v_mad_u32_u24 v45, 0xb40, v49, v36
	v_add_co_ci_u32_e32 v39, vcc_lo, v85, v39, vcc_lo
	v_add_nc_u32_e32 v46, 0x4e0, v120
	v_mad_u64_u32 v[34:35], null, s3, v48, v[34:35]
	v_mad_u64_u32 v[35:36], null, s2, v45, 0
	global_store_dwordx4 v[38:39], v[63:66], off
	v_lshrrev_b32_e32 v39, 5, v46
	v_fma_f64 v[59:60], v[174:175], 2.0, -v[26:27]
	v_lshlrev_b64 v[37:38], 4, v[40:41]
	v_mov_b32_e32 v44, v34
	v_add_co_u32 v32, vcc_lo, v52, v32
	v_mul_hi_u32 v47, 0x5b05b06, v39
	v_mov_b32_e32 v34, v36
	v_lshlrev_b64 v[39:40], 4, v[43:44]
	v_add_nc_u32_e32 v44, 0x540, v120
	v_add_co_ci_u32_e32 v33, vcc_lo, v85, v33, vcc_lo
	v_mad_u64_u32 v[41:42], null, s3, v45, v[34:35]
	v_mul_u32_u24_e32 v36, 0x5a0, v47
	v_add_nc_u32_e32 v34, 0x5a0, v45
	v_lshrrev_b32_e32 v45, 5, v44
	v_add_co_u32 v37, vcc_lo, v52, v37
	v_sub_nc_u32_e32 v46, v46, v36
	v_mov_b32_e32 v36, v41
	v_mul_hi_u32 v41, 0x5b05b06, v45
	v_add_co_ci_u32_e32 v38, vcc_lo, v85, v38, vcc_lo
	v_add_co_u32 v39, vcc_lo, v52, v39
	v_mad_u64_u32 v[42:43], null, s2, v34, 0
	global_store_dwordx4 v[32:33], v[28:31], off
	v_mad_u32_u24 v33, 0xb40, v47, v46
	v_add_co_ci_u32_e32 v40, vcc_lo, v85, v40, vcc_lo
	v_fma_f64 v[22:23], v[164:165], 2.0, -v[10:11]
	v_mul_u32_u24_e32 v31, 0x5a0, v41
	global_store_dwordx4 v[37:38], v[57:60], off
	global_store_dwordx4 v[39:40], v[24:27], off
	v_lshlrev_b64 v[24:25], 4, v[35:36]
	v_add_nc_u32_e32 v35, 0x5a0, v33
	v_mad_u64_u32 v[27:28], null, s2, v33, 0
	v_mov_b32_e32 v26, v43
	v_sub_nc_u32_e32 v36, v44, v31
	v_mad_u64_u32 v[29:30], null, s2, v35, 0
	v_add_co_u32 v24, vcc_lo, v52, v24
	v_mad_u64_u32 v[31:32], null, s3, v34, v[26:27]
	v_mad_u32_u24 v38, 0xb40, v41, v36
	v_add_co_ci_u32_e32 v25, vcc_lo, v85, v25, vcc_lo
	v_mad_u64_u32 v[32:33], null, s3, v33, v[28:29]
	v_mov_b32_e32 v26, v30
	v_mad_u64_u32 v[33:34], null, s2, v38, 0
	v_add_nc_u32_e32 v39, 0x5a0, v38
	v_mov_b32_e32 v43, v31
	v_mad_u64_u32 v[35:36], null, s3, v35, v[26:27]
	global_store_dwordx4 v[24:25], v[20:23], off
	v_mad_u64_u32 v[36:37], null, s2, v39, 0
	v_lshlrev_b64 v[21:22], 4, v[42:43]
	v_mov_b32_e32 v20, v34
	v_mov_b32_e32 v28, v32
	;; [unrolled: 1-line block ×3, first 2 shown]
	v_fma_f64 v[18:19], v[145:146], 2.0, -v[6:7]
	v_fma_f64 v[14:15], v[131:132], 2.0, -v[2:3]
	v_mad_u64_u32 v[23:24], null, s3, v38, v[20:21]
	v_mov_b32_e32 v20, v37
	v_add_co_u32 v21, vcc_lo, v52, v21
	v_lshlrev_b64 v[24:25], 4, v[27:28]
	v_add_co_ci_u32_e32 v22, vcc_lo, v85, v22, vcc_lo
	v_mad_u64_u32 v[26:27], null, s3, v39, v[20:21]
	v_lshlrev_b64 v[27:28], 4, v[29:30]
	v_mov_b32_e32 v34, v23
	v_add_co_u32 v23, vcc_lo, v52, v24
	v_add_co_ci_u32_e32 v24, vcc_lo, v85, v25, vcc_lo
	v_mov_b32_e32 v37, v26
	v_lshlrev_b64 v[29:30], 4, v[33:34]
	v_add_co_u32 v25, vcc_lo, v52, v27
	v_add_co_ci_u32_e32 v26, vcc_lo, v85, v28, vcc_lo
	v_lshlrev_b64 v[27:28], 4, v[36:37]
	v_add_co_u32 v29, vcc_lo, v52, v29
	v_add_co_ci_u32_e32 v30, vcc_lo, v85, v30, vcc_lo
	v_add_co_u32 v27, vcc_lo, v52, v27
	v_add_co_ci_u32_e32 v28, vcc_lo, v85, v28, vcc_lo
	global_store_dwordx4 v[21:22], v[8:11], off
	global_store_dwordx4 v[23:24], v[16:19], off
	global_store_dwordx4 v[25:26], v[4:7], off
	global_store_dwordx4 v[29:30], v[12:15], off
	global_store_dwordx4 v[27:28], v[0:3], off
.LBB0_15:
	s_endpgm
	.section	.rodata,"a",@progbits
	.p2align	6, 0x0
	.amdhsa_kernel fft_rtc_back_len2880_factors_10_6_6_2_2_2_wgs_96_tpt_96_halfLds_dp_op_CI_CI_sbrr_dirReg
		.amdhsa_group_segment_fixed_size 0
		.amdhsa_private_segment_fixed_size 0
		.amdhsa_kernarg_size 104
		.amdhsa_user_sgpr_count 6
		.amdhsa_user_sgpr_private_segment_buffer 1
		.amdhsa_user_sgpr_dispatch_ptr 0
		.amdhsa_user_sgpr_queue_ptr 0
		.amdhsa_user_sgpr_kernarg_segment_ptr 1
		.amdhsa_user_sgpr_dispatch_id 0
		.amdhsa_user_sgpr_flat_scratch_init 0
		.amdhsa_user_sgpr_private_segment_size 0
		.amdhsa_wavefront_size32 1
		.amdhsa_uses_dynamic_stack 0
		.amdhsa_system_sgpr_private_segment_wavefront_offset 0
		.amdhsa_system_sgpr_workgroup_id_x 1
		.amdhsa_system_sgpr_workgroup_id_y 0
		.amdhsa_system_sgpr_workgroup_id_z 0
		.amdhsa_system_sgpr_workgroup_info 0
		.amdhsa_system_vgpr_workitem_id 0
		.amdhsa_next_free_vgpr 250
		.amdhsa_next_free_sgpr 31
		.amdhsa_reserve_vcc 1
		.amdhsa_reserve_flat_scratch 0
		.amdhsa_float_round_mode_32 0
		.amdhsa_float_round_mode_16_64 0
		.amdhsa_float_denorm_mode_32 3
		.amdhsa_float_denorm_mode_16_64 3
		.amdhsa_dx10_clamp 1
		.amdhsa_ieee_mode 1
		.amdhsa_fp16_overflow 0
		.amdhsa_workgroup_processor_mode 1
		.amdhsa_memory_ordered 1
		.amdhsa_forward_progress 0
		.amdhsa_shared_vgpr_count 0
		.amdhsa_exception_fp_ieee_invalid_op 0
		.amdhsa_exception_fp_denorm_src 0
		.amdhsa_exception_fp_ieee_div_zero 0
		.amdhsa_exception_fp_ieee_overflow 0
		.amdhsa_exception_fp_ieee_underflow 0
		.amdhsa_exception_fp_ieee_inexact 0
		.amdhsa_exception_int_div_zero 0
	.end_amdhsa_kernel
	.text
.Lfunc_end0:
	.size	fft_rtc_back_len2880_factors_10_6_6_2_2_2_wgs_96_tpt_96_halfLds_dp_op_CI_CI_sbrr_dirReg, .Lfunc_end0-fft_rtc_back_len2880_factors_10_6_6_2_2_2_wgs_96_tpt_96_halfLds_dp_op_CI_CI_sbrr_dirReg
                                        ; -- End function
	.section	.AMDGPU.csdata,"",@progbits
; Kernel info:
; codeLenInByte = 25952
; NumSgprs: 33
; NumVgprs: 250
; ScratchSize: 0
; MemoryBound: 1
; FloatMode: 240
; IeeeMode: 1
; LDSByteSize: 0 bytes/workgroup (compile time only)
; SGPRBlocks: 4
; VGPRBlocks: 31
; NumSGPRsForWavesPerEU: 33
; NumVGPRsForWavesPerEU: 250
; Occupancy: 4
; WaveLimiterHint : 1
; COMPUTE_PGM_RSRC2:SCRATCH_EN: 0
; COMPUTE_PGM_RSRC2:USER_SGPR: 6
; COMPUTE_PGM_RSRC2:TRAP_HANDLER: 0
; COMPUTE_PGM_RSRC2:TGID_X_EN: 1
; COMPUTE_PGM_RSRC2:TGID_Y_EN: 0
; COMPUTE_PGM_RSRC2:TGID_Z_EN: 0
; COMPUTE_PGM_RSRC2:TIDIG_COMP_CNT: 0
	.text
	.p2alignl 6, 3214868480
	.fill 48, 4, 3214868480
	.type	__hip_cuid_8cbe0e1163337c60,@object ; @__hip_cuid_8cbe0e1163337c60
	.section	.bss,"aw",@nobits
	.globl	__hip_cuid_8cbe0e1163337c60
__hip_cuid_8cbe0e1163337c60:
	.byte	0                               ; 0x0
	.size	__hip_cuid_8cbe0e1163337c60, 1

	.ident	"AMD clang version 19.0.0git (https://github.com/RadeonOpenCompute/llvm-project roc-6.4.0 25133 c7fe45cf4b819c5991fe208aaa96edf142730f1d)"
	.section	".note.GNU-stack","",@progbits
	.addrsig
	.addrsig_sym __hip_cuid_8cbe0e1163337c60
	.amdgpu_metadata
---
amdhsa.kernels:
  - .args:
      - .actual_access:  read_only
        .address_space:  global
        .offset:         0
        .size:           8
        .value_kind:     global_buffer
      - .offset:         8
        .size:           8
        .value_kind:     by_value
      - .actual_access:  read_only
        .address_space:  global
        .offset:         16
        .size:           8
        .value_kind:     global_buffer
      - .actual_access:  read_only
        .address_space:  global
        .offset:         24
        .size:           8
        .value_kind:     global_buffer
      - .actual_access:  read_only
        .address_space:  global
        .offset:         32
        .size:           8
        .value_kind:     global_buffer
      - .offset:         40
        .size:           8
        .value_kind:     by_value
      - .actual_access:  read_only
        .address_space:  global
        .offset:         48
        .size:           8
        .value_kind:     global_buffer
      - .actual_access:  read_only
        .address_space:  global
        .offset:         56
        .size:           8
        .value_kind:     global_buffer
      - .offset:         64
        .size:           4
        .value_kind:     by_value
      - .actual_access:  read_only
        .address_space:  global
        .offset:         72
        .size:           8
        .value_kind:     global_buffer
      - .actual_access:  read_only
        .address_space:  global
        .offset:         80
        .size:           8
        .value_kind:     global_buffer
      - .actual_access:  read_only
        .address_space:  global
        .offset:         88
        .size:           8
        .value_kind:     global_buffer
      - .actual_access:  write_only
        .address_space:  global
        .offset:         96
        .size:           8
        .value_kind:     global_buffer
    .group_segment_fixed_size: 0
    .kernarg_segment_align: 8
    .kernarg_segment_size: 104
    .language:       OpenCL C
    .language_version:
      - 2
      - 0
    .max_flat_workgroup_size: 96
    .name:           fft_rtc_back_len2880_factors_10_6_6_2_2_2_wgs_96_tpt_96_halfLds_dp_op_CI_CI_sbrr_dirReg
    .private_segment_fixed_size: 0
    .sgpr_count:     33
    .sgpr_spill_count: 0
    .symbol:         fft_rtc_back_len2880_factors_10_6_6_2_2_2_wgs_96_tpt_96_halfLds_dp_op_CI_CI_sbrr_dirReg.kd
    .uniform_work_group_size: 1
    .uses_dynamic_stack: false
    .vgpr_count:     250
    .vgpr_spill_count: 0
    .wavefront_size: 32
    .workgroup_processor_mode: 1
amdhsa.target:   amdgcn-amd-amdhsa--gfx1030
amdhsa.version:
  - 1
  - 2
...

	.end_amdgpu_metadata
